;; amdgpu-corpus repo=ROCm/rocFFT kind=compiled arch=gfx950 opt=O3
	.text
	.amdgcn_target "amdgcn-amd-amdhsa--gfx950"
	.amdhsa_code_object_version 6
	.protected	bluestein_single_fwd_len153_dim1_dp_op_CI_CI ; -- Begin function bluestein_single_fwd_len153_dim1_dp_op_CI_CI
	.globl	bluestein_single_fwd_len153_dim1_dp_op_CI_CI
	.p2align	8
	.type	bluestein_single_fwd_len153_dim1_dp_op_CI_CI,@function
bluestein_single_fwd_len153_dim1_dp_op_CI_CI: ; @bluestein_single_fwd_len153_dim1_dp_op_CI_CI
; %bb.0:
	s_load_dwordx4 s[8:11], s[0:1], 0x28
	v_mul_u32_u24_e32 v1, 0xf10, v0
	v_lshrrev_b32_e32 v2, 16, v1
	v_mad_u64_u32 v[152:153], s[2:3], s2, 7, v[2:3]
	v_mov_b32_e32 v153, 0
	s_waitcnt lgkmcnt(0)
	v_cmp_gt_u64_e32 vcc, s[8:9], v[152:153]
	s_and_saveexec_b64 s[2:3], vcc
	s_cbranch_execz .LBB0_15
; %bb.1:
	v_mul_lo_u16_e32 v1, 17, v2
	s_mov_b32 s2, 0x24924925
	v_sub_u16_e32 v144, v0, v1
	v_mul_hi_u32 v0, v152, s2
	v_sub_u32_e32 v1, v152, v0
	v_lshrrev_b32_e32 v1, 1, v1
	v_add_u32_e32 v0, v1, v0
	v_lshrrev_b32_e32 v0, 2, v0
	s_load_dwordx2 s[8:9], s[0:1], 0x0
	s_load_dwordx2 s[12:13], s[0:1], 0x38
	v_mul_lo_u32 v0, v0, 7
	v_sub_u32_e32 v0, v152, v0
	v_mul_u32_u24_e32 v0, 0x99, v0
	v_accvgpr_write_b32 a1, v0
	v_lshlrev_b32_e32 v0, 4, v0
	v_cmp_gt_u16_e32 vcc, 9, v144
	v_lshlrev_b32_e32 v153, 4, v144
	v_accvgpr_write_b32 a2, v0
	s_and_saveexec_b64 s[2:3], vcc
	s_cbranch_execz .LBB0_3
; %bb.2:
	s_load_dwordx2 s[4:5], s[0:1], 0x18
	v_mov_b32_e32 v0, s10
	v_mov_b32_e32 v1, s11
	;; [unrolled: 1-line block ×3, first 2 shown]
	v_or_b32_e32 v65, 0x90, v144
	s_waitcnt lgkmcnt(0)
	s_load_dwordx4 s[4:7], s[4:5], 0x0
	v_accvgpr_read_b32 v52, a2
	v_lshl_add_u32 v142, v144, 4, v52
	v_add_u32_e32 v143, v52, v153
	s_waitcnt lgkmcnt(0)
	v_mad_u64_u32 v[2:3], s[10:11], s6, v152, 0
	v_mad_u64_u32 v[4:5], s[10:11], s4, v144, 0
	v_mov_b32_e32 v6, v3
	v_mov_b32_e32 v8, v5
	v_mad_u64_u32 v[6:7], s[6:7], s7, v152, v[6:7]
	v_mov_b32_e32 v3, v6
	v_mad_u64_u32 v[6:7], s[6:7], s5, v144, v[8:9]
	v_mov_b32_e32 v5, v6
	v_lshl_add_u64 v[60:61], v[2:3], 4, v[0:1]
	v_lshl_add_u64 v[4:5], v[4:5], 4, v[60:61]
	v_mad_u64_u32 v[20:21], s[6:7], s4, v64, v[4:5]
	s_mul_i32 s6, s5, 0x90
	s_nop 0
	v_add_u32_e32 v21, s6, v21
	v_mad_u64_u32 v[22:23], s[10:11], s4, v64, v[20:21]
	global_load_dwordx4 v[0:3], v[4:5], off
	v_add_u32_e32 v23, s6, v23
	global_load_dwordx4 v[4:7], v153, s[8:9]
	global_load_dwordx4 v[8:11], v153, s[8:9] offset:144
	v_mad_u64_u32 v[36:37], s[10:11], s4, v64, v[22:23]
	global_load_dwordx4 v[16:19], v[20:21], off
	global_load_dwordx4 v[12:15], v[22:23], off
	v_add_u32_e32 v37, s6, v37
	v_mad_u64_u32 v[38:39], s[10:11], s4, v64, v[36:37]
	global_load_dwordx4 v[20:23], v153, s[8:9] offset:288
	global_load_dwordx4 v[24:27], v153, s[8:9] offset:432
	v_add_u32_e32 v39, s6, v39
	v_mad_u64_u32 v[48:49], s[10:11], s4, v64, v[38:39]
	global_load_dwordx4 v[32:35], v[36:37], off
	global_load_dwordx4 v[28:31], v[38:39], off
	v_add_u32_e32 v49, s6, v49
	v_mad_u64_u32 v[62:63], s[10:11], s4, v64, v[48:49]
	global_load_dwordx4 v[36:39], v[48:49], off
	global_load_dwordx4 v[44:47], v153, s[8:9] offset:576
	global_load_dwordx4 v[40:43], v153, s[8:9] offset:720
	v_add_u32_e32 v63, s6, v63
	global_load_dwordx4 v[48:51], v[62:63], off
	v_mad_u64_u32 v[130:131], s[10:11], s4, v65, 0
	v_mad_u64_u32 v[62:63], s[10:11], s4, v64, v[62:63]
	v_mov_b32_e32 v66, v131
	v_add_u32_e32 v63, s6, v63
	global_load_dwordx4 v[52:55], v153, s[8:9] offset:864
	global_load_dwordx4 v[56:59], v153, s[8:9] offset:1008
	v_mad_u64_u32 v[132:133], s[10:11], s5, v65, v[66:67]
	global_load_dwordx4 v[66:69], v[62:63], off
	v_mad_u64_u32 v[62:63], s[10:11], s4, v64, v[62:63]
	v_add_u32_e32 v63, s6, v63
	global_load_dwordx4 v[70:73], v[62:63], off
	global_load_dwordx4 v[74:77], v153, s[8:9] offset:1152
	v_mad_u64_u32 v[62:63], s[10:11], s4, v64, v[62:63]
	v_add_u32_e32 v63, s6, v63
	global_load_dwordx4 v[78:81], v[62:63], off
	global_load_dwordx4 v[82:85], v153, s[8:9] offset:1296
	;; [unrolled: 4-line block ×7, first 2 shown]
	v_mad_u64_u32 v[62:63], s[4:5], s4, v64, v[62:63]
	v_add_u32_e32 v63, s6, v63
	global_load_dwordx4 v[62:65], v[62:63], off
	s_nop 0
	global_load_dwordx4 v[126:129], v153, s[8:9] offset:2160
	v_mov_b32_e32 v131, v132
	v_lshl_add_u64 v[60:61], v[130:131], 4, v[60:61]
	global_load_dwordx4 v[130:133], v[60:61], off
	global_load_dwordx4 v[138:141], v153, s[8:9] offset:2304
	s_waitcnt vmcnt(32)
	v_mul_f64 v[134:135], v[2:3], v[6:7]
	v_mul_f64 v[6:7], v[0:1], v[6:7]
	v_fmac_f64_e32 v[134:135], v[0:1], v[4:5]
	v_fma_f64 v[136:137], v[2:3], v[4:5], -v[6:7]
	s_waitcnt vmcnt(30)
	v_mul_f64 v[0:1], v[18:19], v[10:11]
	v_mul_f64 v[2:3], v[16:17], v[10:11]
	v_fmac_f64_e32 v[0:1], v[16:17], v[8:9]
	v_fma_f64 v[2:3], v[18:19], v[8:9], -v[2:3]
	ds_write_b128 v142, v[134:137]
	ds_write_b128 v143, v[0:3] offset:144
	s_waitcnt vmcnt(28)
	v_mul_f64 v[0:1], v[14:15], v[22:23]
	v_mul_f64 v[2:3], v[12:13], v[22:23]
	v_fmac_f64_e32 v[0:1], v[12:13], v[20:21]
	v_fma_f64 v[2:3], v[14:15], v[20:21], -v[2:3]
	ds_write_b128 v143, v[0:3] offset:288
	s_waitcnt vmcnt(26)
	v_mul_f64 v[0:1], v[34:35], v[26:27]
	v_mul_f64 v[2:3], v[32:33], v[26:27]
	v_fmac_f64_e32 v[0:1], v[32:33], v[24:25]
	v_fma_f64 v[2:3], v[34:35], v[24:25], -v[2:3]
	;; [unrolled: 6-line block ×4, first 2 shown]
	s_waitcnt vmcnt(20)
	v_mul_f64 v[4:5], v[50:51], v[54:55]
	v_mul_f64 v[6:7], v[48:49], v[54:55]
	v_fmac_f64_e32 v[4:5], v[48:49], v[52:53]
	v_fma_f64 v[6:7], v[50:51], v[52:53], -v[6:7]
	ds_write_b128 v143, v[0:3] offset:720
	ds_write_b128 v143, v[4:7] offset:864
	s_waitcnt vmcnt(18)
	v_mul_f64 v[0:1], v[68:69], v[58:59]
	v_mul_f64 v[2:3], v[66:67], v[58:59]
	v_fmac_f64_e32 v[0:1], v[66:67], v[56:57]
	v_fma_f64 v[2:3], v[68:69], v[56:57], -v[2:3]
	ds_write_b128 v143, v[0:3] offset:1008
	s_waitcnt vmcnt(16)
	v_mul_f64 v[0:1], v[72:73], v[76:77]
	v_mul_f64 v[2:3], v[70:71], v[76:77]
	v_fmac_f64_e32 v[0:1], v[70:71], v[74:75]
	v_fma_f64 v[2:3], v[72:73], v[74:75], -v[2:3]
	;; [unrolled: 6-line block ×10, first 2 shown]
	ds_write_b128 v143, v[0:3] offset:2304
.LBB0_3:
	s_or_b64 exec, exec, s[2:3]
	s_load_dwordx2 s[2:3], s[0:1], 0x20
	s_load_dwordx2 s[4:5], s[0:1], 0x8
	v_accvgpr_write_b32 a0, v144
	s_waitcnt lgkmcnt(0)
	s_barrier
	s_waitcnt lgkmcnt(0)
                                        ; implicit-def: $vgpr34_vgpr35
                                        ; implicit-def: $vgpr36_vgpr37
                                        ; implicit-def: $vgpr40_vgpr41
                                        ; implicit-def: $vgpr44_vgpr45
                                        ; implicit-def: $vgpr48_vgpr49
                                        ; implicit-def: $vgpr52_vgpr53
                                        ; implicit-def: $vgpr56_vgpr57
                                        ; implicit-def: $vgpr60_vgpr61
                                        ; implicit-def: $vgpr64_vgpr65
                                        ; implicit-def: $vgpr68_vgpr69
                                        ; implicit-def: $vgpr72_vgpr73
                                        ; implicit-def: $vgpr76_vgpr77
                                        ; implicit-def: $vgpr80_vgpr81
                                        ; implicit-def: $vgpr84_vgpr85
                                        ; implicit-def: $vgpr88_vgpr89
                                        ; implicit-def: $vgpr92_vgpr93
                                        ; implicit-def: $vgpr96_vgpr97
	s_and_saveexec_b64 s[0:1], vcc
	s_cbranch_execz .LBB0_5
; %bb.4:
	v_accvgpr_read_b32 v0, a1
	v_lshl_add_u32 v0, v0, 4, v153
	ds_read_b128 v[32:35], v0
	ds_read_b128 v[36:39], v0 offset:144
	ds_read_b128 v[40:43], v0 offset:288
	;; [unrolled: 1-line block ×16, first 2 shown]
.LBB0_5:
	s_or_b64 exec, exec, s[0:1]
	s_mov_b32 s24, 0x5d8e7cdc
	s_waitcnt lgkmcnt(0)
	v_add_f64 v[30:31], v[38:39], -v[98:99]
	s_mov_b32 s25, 0xbfd71e95
	s_mov_b32 s26, 0x2a9d6da3
	;; [unrolled: 1-line block ×3, first 2 shown]
	v_mul_f64 v[0:1], v[30:31], s[24:25]
	s_mov_b32 s27, 0xbfe58eea
	v_add_f64 v[100:101], v[42:43], -v[94:95]
	v_add_f64 v[128:129], v[36:37], v[96:97]
	v_add_f64 v[28:29], v[36:37], -v[96:97]
	s_mov_b32 s1, 0x3fedd6d0
	v_accvgpr_write_b32 a21, v1
	s_mov_b32 s6, 0x75d4884
	v_mul_f64 v[2:3], v[100:101], s[26:27]
	v_mul_f64 v[4:5], v[28:29], s[24:25]
	v_accvgpr_write_b32 a20, v0
	v_fma_f64 v[0:1], s[0:1], v[128:129], v[0:1]
	s_mov_b32 s7, 0x3fe7a5f6
	v_add_f64 v[140:141], v[40:41], v[92:93]
	v_accvgpr_write_b32 a25, v3
	v_add_f64 v[130:131], v[38:39], v[98:99]
	v_add_f64 v[0:1], v[32:33], v[0:1]
	v_accvgpr_write_b32 a24, v2
	v_fma_f64 v[2:3], s[6:7], v[140:141], v[2:3]
	v_accvgpr_write_b32 a23, v5
	v_add_f64 v[102:103], v[40:41], -v[92:93]
	v_add_f64 v[0:1], v[2:3], v[0:1]
	v_accvgpr_write_b32 a22, v4
	v_fma_f64 v[2:3], v[130:131], s[0:1], -v[4:5]
	v_mul_f64 v[4:5], v[102:103], s[26:27]
	v_add_f64 v[142:143], v[42:43], v[94:95]
	v_accvgpr_write_b32 a27, v5
	s_mov_b32 s34, 0x7c9e640b
	v_add_f64 v[2:3], v[34:35], v[2:3]
	v_accvgpr_write_b32 a26, v4
	v_fma_f64 v[4:5], v[142:143], s[6:7], -v[4:5]
	s_mov_b32 s35, 0xbfeca52d
	v_add_f64 v[104:105], v[46:47], -v[90:91]
	v_add_f64 v[2:3], v[4:5], v[2:3]
	s_mov_b32 s10, 0x2b2883cd
	v_mul_f64 v[4:5], v[104:105], s[34:35]
	s_mov_b32 s11, 0x3fdc86fa
	v_add_f64 v[146:147], v[44:45], v[88:89]
	v_accvgpr_write_b32 a29, v5
	v_accvgpr_write_b32 a28, v4
	v_fma_f64 v[4:5], s[10:11], v[146:147], v[4:5]
	v_add_f64 v[106:107], v[44:45], -v[88:89]
	v_add_f64 v[0:1], v[4:5], v[0:1]
	v_mul_f64 v[4:5], v[106:107], s[34:35]
	v_add_f64 v[148:149], v[46:47], v[90:91]
	v_accvgpr_write_b32 a31, v5
	s_mov_b32 s30, 0xeb564b22
	v_accvgpr_write_b32 a30, v4
	v_fma_f64 v[4:5], v[148:149], s[10:11], -v[4:5]
	s_mov_b32 s31, 0xbfefdd0d
	v_add_f64 v[108:109], v[50:51], -v[86:87]
	v_add_f64 v[2:3], v[4:5], v[2:3]
	s_mov_b32 s14, 0x3259b75e
	v_mul_f64 v[4:5], v[108:109], s[30:31]
	s_mov_b32 s15, 0x3fb79ee6
	v_add_f64 v[156:157], v[48:49], v[84:85]
	v_accvgpr_write_b32 a33, v5
	v_accvgpr_write_b32 a32, v4
	v_fma_f64 v[4:5], s[14:15], v[156:157], v[4:5]
	v_add_f64 v[110:111], v[48:49], -v[84:85]
	v_add_f64 v[0:1], v[4:5], v[0:1]
	v_mul_f64 v[4:5], v[110:111], s[30:31]
	v_add_f64 v[158:159], v[50:51], v[86:87]
	v_accvgpr_write_b32 a35, v5
	s_mov_b32 s28, 0x923c349f
	;; [unrolled: 18-line block ×5, first 2 shown]
	v_accvgpr_write_b32 a46, v4
	v_fma_f64 v[4:5], v[180:181], s[20:21], -v[4:5]
	s_mov_b32 s41, 0xbfc7851a
	v_add_f64 v[242:243], v[66:67], -v[70:71]
	v_add_f64 v[2:3], v[4:5], v[2:3]
	s_mov_b32 s22, 0x7faef3
	v_mul_f64 v[4:5], v[242:243], s[40:41]
	s_mov_b32 s23, 0xbfef7484
	v_add_f64 v[192:193], v[64:65], v[68:69]
	v_accvgpr_write_b32 a49, v5
	v_accvgpr_write_b32 a48, v4
	v_fma_f64 v[4:5], s[22:23], v[192:193], v[4:5]
	v_add_f64 v[246:247], v[64:65], -v[68:69]
	v_add_f64 v[4:5], v[4:5], v[0:1]
	v_mul_f64 v[0:1], v[246:247], s[40:41]
	v_add_f64 v[200:201], v[66:67], v[70:71]
	v_accvgpr_write_b32 a51, v1
	v_accvgpr_write_b32 a50, v0
	v_fma_f64 v[0:1], v[200:201], s[22:23], -v[0:1]
	v_add_f64 v[6:7], v[0:1], v[2:3]
	v_mul_f64 v[0:1], v[30:31], s[26:27]
	v_accvgpr_write_b32 a53, v1
	v_mul_f64 v[2:3], v[100:101], s[30:31]
	v_accvgpr_write_b32 a52, v0
	v_fma_f64 v[0:1], s[6:7], v[128:129], v[0:1]
	v_accvgpr_write_b32 a55, v3
	v_add_f64 v[0:1], v[32:33], v[0:1]
	v_accvgpr_write_b32 a54, v2
	v_fma_f64 v[2:3], s[14:15], v[140:141], v[2:3]
	v_accvgpr_write_b32 a4, v4
	v_add_f64 v[0:1], v[2:3], v[0:1]
	v_mul_f64 v[2:3], v[28:29], s[26:27]
	v_accvgpr_write_b32 a5, v5
	v_accvgpr_write_b32 a6, v6
	;; [unrolled: 1-line block ×4, first 2 shown]
	v_mul_f64 v[4:5], v[102:103], s[30:31]
	v_accvgpr_write_b32 a60, v2
	v_fma_f64 v[2:3], v[130:131], s[6:7], -v[2:3]
	v_accvgpr_write_b32 a63, v5
	v_add_f64 v[2:3], v[34:35], v[2:3]
	v_accvgpr_write_b32 a62, v4
	v_fma_f64 v[4:5], v[142:143], s[14:15], -v[4:5]
	v_add_f64 v[2:3], v[4:5], v[2:3]
	v_mul_f64 v[4:5], v[104:105], s[36:37]
	v_accvgpr_write_b32 a57, v5
	v_accvgpr_write_b32 a56, v4
	v_fma_f64 v[4:5], s[18:19], v[146:147], v[4:5]
	v_add_f64 v[0:1], v[4:5], v[0:1]
	v_mul_f64 v[4:5], v[106:107], s[36:37]
	v_accvgpr_write_b32 a67, v5
	v_accvgpr_write_b32 a66, v4
	v_fma_f64 v[4:5], v[148:149], s[18:19], -v[4:5]
	v_add_f64 v[2:3], v[4:5], v[2:3]
	v_mul_f64 v[4:5], v[108:109], s[40:41]
	v_accvgpr_write_b32 a59, v5
	v_accvgpr_write_b32 a58, v4
	v_fma_f64 v[4:5], s[22:23], v[156:157], v[4:5]
	v_add_f64 v[0:1], v[4:5], v[0:1]
	v_mul_f64 v[4:5], v[110:111], s[40:41]
	v_accvgpr_write_b32 a71, v5
	v_accvgpr_write_b32 a70, v4
	v_fma_f64 v[4:5], v[158:159], s[22:23], -v[4:5]
	s_mov_b32 s51, 0x3fe0d888
	s_mov_b32 s50, s38
	v_add_f64 v[2:3], v[4:5], v[2:3]
	v_mul_f64 v[4:5], v[166:167], s[50:51]
	v_accvgpr_write_b32 a65, v5
	v_accvgpr_write_b32 a64, v4
	v_fma_f64 v[4:5], s[20:21], v[162:163], v[4:5]
	v_add_f64 v[0:1], v[4:5], v[0:1]
	v_mul_f64 v[4:5], v[168:169], s[50:51]
	v_accvgpr_write_b32 a75, v5
	v_accvgpr_write_b32 a74, v4
	v_fma_f64 v[4:5], v[164:165], s[20:21], -v[4:5]
	s_mov_b32 s49, 0x3feec746
	s_mov_b32 s48, s28
	;; [unrolled: 12-line block ×4, first 2 shown]
	v_add_f64 v[2:3], v[4:5], v[2:3]
	v_mul_f64 v[4:5], v[242:243], s[44:45]
	v_accvgpr_write_b32 a77, v5
	v_accvgpr_write_b32 a76, v4
	v_fma_f64 v[4:5], s[0:1], v[192:193], v[4:5]
	v_add_f64 v[4:5], v[4:5], v[0:1]
	v_mul_f64 v[0:1], v[246:247], s[44:45]
	v_accvgpr_write_b32 a83, v1
	v_accvgpr_write_b32 a82, v0
	v_fma_f64 v[0:1], v[200:201], s[0:1], -v[0:1]
	v_add_f64 v[6:7], v[0:1], v[2:3]
	v_mul_f64 v[0:1], v[30:31], s[34:35]
	v_accvgpr_write_b32 a85, v1
	v_mul_f64 v[2:3], v[100:101], s[36:37]
	v_accvgpr_write_b32 a84, v0
	v_fma_f64 v[0:1], s[10:11], v[128:129], v[0:1]
	v_accvgpr_write_b32 a87, v3
	v_add_f64 v[0:1], v[32:33], v[0:1]
	v_accvgpr_write_b32 a86, v2
	v_fma_f64 v[2:3], s[18:19], v[140:141], v[2:3]
	v_accvgpr_write_b32 a11, v7
	v_add_f64 v[0:1], v[2:3], v[0:1]
	v_mul_f64 v[2:3], v[28:29], s[34:35]
	v_accvgpr_write_b32 a10, v6
	v_accvgpr_write_b32 a9, v5
	;; [unrolled: 1-line block ×4, first 2 shown]
	v_mul_f64 v[4:5], v[102:103], s[36:37]
	v_accvgpr_write_b32 a98, v2
	v_fma_f64 v[2:3], v[130:131], s[10:11], -v[2:3]
	v_accvgpr_write_b32 a101, v5
	v_add_f64 v[2:3], v[34:35], v[2:3]
	v_accvgpr_write_b32 a100, v4
	v_fma_f64 v[4:5], v[142:143], s[18:19], -v[4:5]
	s_mov_b32 s47, 0x3fc7851a
	s_mov_b32 s46, s40
	v_add_f64 v[2:3], v[4:5], v[2:3]
	v_mul_f64 v[4:5], v[104:105], s[46:47]
	v_accvgpr_write_b32 a89, v5
	v_accvgpr_write_b32 a88, v4
	v_fma_f64 v[4:5], s[22:23], v[146:147], v[4:5]
	v_add_f64 v[0:1], v[4:5], v[0:1]
	v_mul_f64 v[4:5], v[106:107], s[46:47]
	v_accvgpr_write_b32 a105, v5
	v_accvgpr_write_b32 a104, v4
	v_fma_f64 v[4:5], v[148:149], s[22:23], -v[4:5]
	v_add_f64 v[2:3], v[4:5], v[2:3]
	v_mul_f64 v[4:5], v[108:109], s[48:49]
	v_accvgpr_write_b32 a91, v5
	v_accvgpr_write_b32 a90, v4
	v_fma_f64 v[4:5], s[16:17], v[156:157], v[4:5]
	v_add_f64 v[0:1], v[4:5], v[0:1]
	v_mul_f64 v[4:5], v[110:111], s[48:49]
	v_accvgpr_write_b32 a107, v5
	v_accvgpr_write_b32 a106, v4
	v_fma_f64 v[4:5], v[158:159], s[16:17], -v[4:5]
	s_mov_b32 s47, 0x3fe58eea
	s_mov_b32 s46, s26
	v_add_f64 v[2:3], v[4:5], v[2:3]
	v_mul_f64 v[4:5], v[166:167], s[46:47]
	v_accvgpr_write_b32 a93, v5
	v_accvgpr_write_b32 a92, v4
	v_fma_f64 v[4:5], s[6:7], v[162:163], v[4:5]
	v_add_f64 v[0:1], v[4:5], v[0:1]
	v_mul_f64 v[4:5], v[168:169], s[46:47]
	v_accvgpr_write_b32 a109, v5
	v_accvgpr_write_b32 a108, v4
	v_fma_f64 v[4:5], v[164:165], s[6:7], -v[4:5]
	v_add_f64 v[2:3], v[4:5], v[2:3]
	v_mul_f64 v[4:5], v[202:203], s[24:25]
	v_accvgpr_write_b32 a95, v5
	v_accvgpr_write_b32 a94, v4
	v_fma_f64 v[4:5], s[0:1], v[170:171], v[4:5]
	v_add_f64 v[0:1], v[4:5], v[0:1]
	v_mul_f64 v[4:5], v[206:207], s[24:25]
	v_accvgpr_write_b32 a111, v5
	v_accvgpr_write_b32 a110, v4
	v_fma_f64 v[4:5], v[172:173], s[0:1], -v[4:5]
	v_add_f64 v[2:3], v[4:5], v[2:3]
	v_mul_f64 v[4:5], v[218:219], s[30:31]
	v_accvgpr_write_b32 a97, v5
	v_accvgpr_write_b32 a96, v4
	v_fma_f64 v[4:5], s[14:15], v[176:177], v[4:5]
	v_add_f64 v[0:1], v[4:5], v[0:1]
	v_mul_f64 v[4:5], v[220:221], s[30:31]
	v_accvgpr_write_b32 a113, v5
	v_accvgpr_write_b32 a112, v4
	v_fma_f64 v[4:5], v[180:181], s[14:15], -v[4:5]
	v_add_f64 v[2:3], v[4:5], v[2:3]
	v_mul_f64 v[4:5], v[242:243], s[38:39]
	v_accvgpr_write_b32 a103, v5
	v_accvgpr_write_b32 a102, v4
	v_fma_f64 v[4:5], s[20:21], v[192:193], v[4:5]
	v_add_f64 v[20:21], v[4:5], v[0:1]
	v_mul_f64 v[0:1], v[246:247], s[38:39]
	v_accvgpr_write_b32 a115, v1
	v_accvgpr_write_b32 a114, v0
	v_fma_f64 v[0:1], v[200:201], s[20:21], -v[0:1]
	v_add_f64 v[22:23], v[0:1], v[2:3]
	v_mul_f64 v[0:1], v[30:31], s[30:31]
	v_accvgpr_write_b32 a117, v1
	v_mul_f64 v[2:3], v[100:101], s[40:41]
	v_accvgpr_write_b32 a116, v0
	v_fma_f64 v[0:1], s[14:15], v[128:129], v[0:1]
	v_accvgpr_write_b32 a119, v3
	v_add_f64 v[0:1], v[32:33], v[0:1]
	v_accvgpr_write_b32 a118, v2
	v_fma_f64 v[2:3], s[22:23], v[140:141], v[2:3]
	v_add_f64 v[0:1], v[2:3], v[0:1]
	v_mul_f64 v[2:3], v[28:29], s[30:31]
	v_accvgpr_write_b32 a125, v3
	v_mul_f64 v[4:5], v[102:103], s[40:41]
	v_accvgpr_write_b32 a124, v2
	v_fma_f64 v[2:3], v[130:131], s[14:15], -v[2:3]
	v_accvgpr_write_b32 a129, v5
	v_add_f64 v[2:3], v[34:35], v[2:3]
	v_accvgpr_write_b32 a128, v4
	v_fma_f64 v[4:5], v[142:143], s[22:23], -v[4:5]
	v_add_f64 v[2:3], v[4:5], v[2:3]
	v_mul_f64 v[4:5], v[104:105], s[48:49]
	v_accvgpr_write_b32 a121, v5
	v_accvgpr_write_b32 a120, v4
	v_fma_f64 v[4:5], s[16:17], v[146:147], v[4:5]
	v_add_f64 v[0:1], v[4:5], v[0:1]
	v_mul_f64 v[4:5], v[106:107], s[48:49]
	v_accvgpr_write_b32 a133, v5
	v_accvgpr_write_b32 a132, v4
	v_fma_f64 v[4:5], v[148:149], s[16:17], -v[4:5]
	v_add_f64 v[2:3], v[4:5], v[2:3]
	v_mul_f64 v[4:5], v[108:109], s[44:45]
	v_accvgpr_write_b32 a123, v5
	v_accvgpr_write_b32 a122, v4
	v_fma_f64 v[4:5], s[0:1], v[156:157], v[4:5]
	v_add_f64 v[0:1], v[4:5], v[0:1]
	v_mul_f64 v[4:5], v[110:111], s[44:45]
	v_accvgpr_write_b32 a137, v5
	v_accvgpr_write_b32 a136, v4
	v_fma_f64 v[4:5], v[158:159], s[0:1], -v[4:5]
	v_add_f64 v[2:3], v[4:5], v[2:3]
	v_mul_f64 v[4:5], v[166:167], s[34:35]
	v_accvgpr_write_b32 a127, v5
	v_accvgpr_write_b32 a126, v4
	v_fma_f64 v[4:5], s[10:11], v[162:163], v[4:5]
	v_add_f64 v[0:1], v[4:5], v[0:1]
	v_mul_f64 v[4:5], v[168:169], s[34:35]
	v_accvgpr_write_b32 a141, v5
	v_accvgpr_write_b32 a140, v4
	v_fma_f64 v[4:5], v[164:165], s[10:11], -v[4:5]
	v_add_f64 v[2:3], v[4:5], v[2:3]
	v_mul_f64 v[4:5], v[202:203], s[38:39]
	v_accvgpr_write_b32 a131, v5
	v_accvgpr_write_b32 a130, v4
	v_fma_f64 v[4:5], s[20:21], v[170:171], v[4:5]
	v_add_f64 v[0:1], v[4:5], v[0:1]
	v_mul_f64 v[4:5], v[206:207], s[38:39]
	v_accvgpr_write_b32 a143, v5
	v_accvgpr_write_b32 a142, v4
	v_fma_f64 v[4:5], v[172:173], s[20:21], -v[4:5]
	s_mov_b32 s53, 0x3fe9895b
	s_mov_b32 s52, s36
	v_add_f64 v[2:3], v[4:5], v[2:3]
	v_mul_f64 v[4:5], v[218:219], s[52:53]
	v_accvgpr_write_b32 a135, v5
	v_accvgpr_write_b32 a134, v4
	v_fma_f64 v[4:5], s[18:19], v[176:177], v[4:5]
	v_mul_f64 v[150:151], v[220:221], s[52:53]
	v_add_f64 v[0:1], v[4:5], v[0:1]
	v_fma_f64 v[4:5], v[180:181], s[18:19], -v[150:151]
	v_add_f64 v[2:3], v[4:5], v[2:3]
	v_mul_f64 v[4:5], v[242:243], s[46:47]
	v_accvgpr_write_b32 a139, v5
	v_accvgpr_write_b32 a138, v4
	v_fma_f64 v[4:5], s[6:7], v[192:193], v[4:5]
	v_mul_f64 v[154:155], v[246:247], s[46:47]
	v_add_f64 v[24:25], v[4:5], v[0:1]
	v_fma_f64 v[0:1], v[200:201], s[6:7], -v[154:155]
	v_mul_f64 v[112:113], v[30:31], s[28:29]
	v_add_f64 v[26:27], v[0:1], v[2:3]
	v_fma_f64 v[0:1], s[16:17], v[128:129], v[112:113]
	v_mul_f64 v[114:115], v[100:101], s[50:51]
	v_add_f64 v[0:1], v[32:33], v[0:1]
	v_fma_f64 v[2:3], s[20:21], v[140:141], v[114:115]
	v_mul_f64 v[178:179], v[28:29], s[28:29]
	v_add_f64 v[0:1], v[2:3], v[0:1]
	v_fma_f64 v[2:3], v[130:131], s[16:17], -v[178:179]
	v_mul_f64 v[184:185], v[102:103], s[50:51]
	v_add_f64 v[2:3], v[34:35], v[2:3]
	v_fma_f64 v[4:5], v[142:143], s[20:21], -v[184:185]
	v_mul_f64 v[160:161], v[104:105], s[46:47]
	v_add_f64 v[2:3], v[4:5], v[2:3]
	v_fma_f64 v[4:5], s[6:7], v[146:147], v[160:161]
	v_mul_f64 v[188:189], v[106:107], s[46:47]
	v_add_f64 v[0:1], v[4:5], v[0:1]
	v_fma_f64 v[4:5], v[148:149], s[6:7], -v[188:189]
	v_mul_f64 v[174:175], v[108:109], s[34:35]
	v_add_f64 v[2:3], v[4:5], v[2:3]
	v_fma_f64 v[4:5], s[10:11], v[156:157], v[174:175]
	;; [unrolled: 6-line block ×3, first 2 shown]
	v_mul_f64 v[198:199], v[168:169], s[40:41]
	s_mov_b32 s35, 0x3fefdd0d
	s_mov_b32 s34, s30
	v_add_f64 v[0:1], v[4:5], v[0:1]
	v_fma_f64 v[4:5], v[164:165], s[22:23], -v[198:199]
	v_mul_f64 v[186:187], v[202:203], s[34:35]
	v_add_f64 v[2:3], v[4:5], v[2:3]
	v_fma_f64 v[4:5], s[14:15], v[170:171], v[186:187]
	v_mul_f64 v[204:205], v[206:207], s[34:35]
	v_add_f64 v[0:1], v[4:5], v[0:1]
	v_fma_f64 v[4:5], v[172:173], s[14:15], -v[204:205]
	v_mul_f64 v[190:191], v[218:219], s[24:25]
	v_add_f64 v[2:3], v[4:5], v[2:3]
	v_fma_f64 v[4:5], s[0:1], v[176:177], v[190:191]
	v_mul_f64 v[208:209], v[220:221], s[24:25]
	;; [unrolled: 6-line block ×4, first 2 shown]
	v_add_f64 v[0:1], v[32:33], v[0:1]
	v_fma_f64 v[2:3], s[16:17], v[140:141], v[214:215]
	v_mul_f64 v[224:225], v[28:29], s[36:37]
	v_add_f64 v[0:1], v[2:3], v[0:1]
	v_fma_f64 v[2:3], v[130:131], s[18:19], -v[224:225]
	v_mul_f64 v[228:229], v[102:103], s[48:49]
	v_add_f64 v[2:3], v[34:35], v[2:3]
	v_fma_f64 v[4:5], v[142:143], s[16:17], -v[228:229]
	v_mul_f64 v[216:217], v[104:105], s[24:25]
	v_add_f64 v[2:3], v[4:5], v[2:3]
	v_fma_f64 v[4:5], s[0:1], v[146:147], v[216:217]
	v_mul_f64 v[232:233], v[106:107], s[24:25]
	v_add_f64 v[0:1], v[4:5], v[0:1]
	v_fma_f64 v[4:5], v[148:149], s[0:1], -v[232:233]
	v_mul_f64 v[222:223], v[108:109], s[38:39]
	v_add_f64 v[2:3], v[4:5], v[2:3]
	v_fma_f64 v[4:5], s[20:21], v[156:157], v[222:223]
	;; [unrolled: 6-line block ×7, first 2 shown]
	v_mul_f64 v[250:251], v[100:101], s[42:43]
	v_add_f64 v[0:1], v[32:33], v[0:1]
	v_fma_f64 v[2:3], s[10:11], v[140:141], v[250:251]
	v_mul_f64 v[254:255], v[28:29], s[38:39]
	v_accvgpr_write_b32 a15, v7
	v_add_f64 v[0:1], v[2:3], v[0:1]
	v_fma_f64 v[2:3], v[130:131], s[20:21], -v[254:255]
	v_mul_f64 v[124:125], v[102:103], s[42:43]
	v_accvgpr_write_b32 a14, v6
	v_accvgpr_write_b32 a13, v5
	;; [unrolled: 1-line block ×3, first 2 shown]
	v_add_f64 v[2:3], v[34:35], v[2:3]
	v_fma_f64 v[4:5], v[142:143], s[10:11], -v[124:125]
	v_mul_f64 v[252:253], v[104:105], s[30:31]
	v_add_f64 v[2:3], v[4:5], v[2:3]
	v_fma_f64 v[4:5], s[14:15], v[146:147], v[252:253]
	v_mul_f64 v[132:133], v[106:107], s[30:31]
	v_add_f64 v[0:1], v[4:5], v[0:1]
	v_fma_f64 v[4:5], v[148:149], s[14:15], -v[132:133]
	v_mul_f64 v[120:121], v[108:109], s[52:53]
	v_add_f64 v[4:5], v[4:5], v[2:3]
	v_fma_f64 v[2:3], s[18:19], v[156:157], v[120:121]
	v_add_f64 v[0:1], v[2:3], v[0:1]
	v_mul_f64 v[2:3], v[110:111], s[52:53]
	v_fma_f64 v[6:7], v[158:159], s[18:19], -v[2:3]
	v_mul_f64 v[122:123], v[166:167], s[24:25]
	v_add_f64 v[4:5], v[6:7], v[4:5]
	v_fma_f64 v[6:7], s[0:1], v[162:163], v[122:123]
	v_mul_f64 v[136:137], v[168:169], s[24:25]
	v_add_f64 v[0:1], v[6:7], v[0:1]
	v_fma_f64 v[6:7], v[164:165], s[0:1], -v[136:137]
	v_mul_f64 v[126:127], v[202:203], s[40:41]
	v_add_f64 v[6:7], v[6:7], v[4:5]
	v_fma_f64 v[4:5], s[22:23], v[170:171], v[126:127]
	v_add_f64 v[8:9], v[4:5], v[0:1]
	v_mul_f64 v[4:5], v[206:207], s[40:41]
	v_fma_f64 v[0:1], v[172:173], s[22:23], -v[4:5]
	v_add_f64 v[10:11], v[0:1], v[6:7]
	v_mul_f64 v[0:1], v[218:219], s[46:47]
	v_fma_f64 v[6:7], s[6:7], v[176:177], v[0:1]
	v_add_f64 v[8:9], v[6:7], v[8:9]
	v_mul_f64 v[6:7], v[220:221], s[46:47]
	v_fma_f64 v[12:13], v[180:181], s[6:7], -v[6:7]
	v_mul_f64 v[134:135], v[242:243], s[28:29]
	v_add_f64 v[10:11], v[12:13], v[10:11]
	v_fma_f64 v[12:13], s[16:17], v[192:193], v[134:135]
	v_mul_f64 v[138:139], v[246:247], s[28:29]
	v_add_f64 v[12:13], v[12:13], v[8:9]
	v_fma_f64 v[8:9], v[200:201], s[16:17], -v[138:139]
	v_add_f64 v[14:15], v[8:9], v[10:11]
	v_mul_f64 v[8:9], v[30:31], s[40:41]
	v_accvgpr_write_b32 a19, v15
	v_fma_f64 v[10:11], s[22:23], v[128:129], v[8:9]
	v_accvgpr_write_b32 a18, v14
	v_accvgpr_write_b32 a17, v13
	;; [unrolled: 1-line block ×3, first 2 shown]
	v_add_f64 v[12:13], v[32:33], v[10:11]
	v_mul_f64 v[10:11], v[100:101], s[44:45]
	v_fma_f64 v[14:15], s[0:1], v[140:141], v[10:11]
	v_mul_f64 v[144:145], v[28:29], s[40:41]
	v_add_f64 v[14:15], v[14:15], v[12:13]
	v_fma_f64 v[12:13], v[130:131], s[22:23], -v[144:145]
	v_add_f64 v[28:29], v[34:35], v[12:13]
	v_mul_f64 v[12:13], v[102:103], s[44:45]
	v_fma_f64 v[30:31], v[142:143], s[0:1], -v[12:13]
	v_mul_f64 v[100:101], v[104:105], s[38:39]
	v_add_f64 v[28:29], v[30:31], v[28:29]
	v_fma_f64 v[30:31], s[20:21], v[146:147], v[100:101]
	v_mul_f64 v[106:107], v[106:107], s[38:39]
	v_add_f64 v[14:15], v[30:31], v[14:15]
	v_fma_f64 v[30:31], v[148:149], s[20:21], -v[106:107]
	v_mul_f64 v[102:103], v[108:109], s[46:47]
	v_add_f64 v[28:29], v[30:31], v[28:29]
	v_fma_f64 v[30:31], s[6:7], v[156:157], v[102:103]
	v_mul_f64 v[110:111], v[110:111], s[46:47]
	v_add_f64 v[14:15], v[30:31], v[14:15]
	;; [unrolled: 6-line block ×3, first 2 shown]
	v_fma_f64 v[14:15], v[164:165], s[18:19], -v[168:169]
	v_add_f64 v[28:29], v[14:15], v[28:29]
	v_mul_f64 v[14:15], v[202:203], s[42:43]
	v_fma_f64 v[108:109], s[10:11], v[170:171], v[14:15]
	v_mul_f64 v[202:203], v[206:207], s[42:43]
	v_add_f64 v[30:31], v[108:109], v[30:31]
	v_fma_f64 v[108:109], v[172:173], s[10:11], -v[202:203]
	v_add_f64 v[28:29], v[108:109], v[28:29]
	v_mul_f64 v[108:109], v[218:219], s[28:29]
	v_fma_f64 v[166:167], s[16:17], v[176:177], v[108:109]
	v_mul_f64 v[206:207], v[220:221], s[28:29]
	v_add_f64 v[30:31], v[166:167], v[30:31]
	v_fma_f64 v[166:167], v[180:181], s[16:17], -v[206:207]
	v_add_f64 v[220:221], v[166:167], v[28:29]
	v_mul_f64 v[166:167], v[242:243], s[34:35]
	v_mul_f64 v[218:219], v[246:247], s[34:35]
	v_fma_f64 v[28:29], s[14:15], v[192:193], v[166:167]
	v_add_f64 v[28:29], v[28:29], v[30:31]
	v_fma_f64 v[30:31], v[200:201], s[14:15], -v[218:219]
	v_add_f64 v[30:31], v[30:31], v[220:221]
	v_accvgpr_read_b32 v221, a0
	v_mul_lo_u16_e32 v220, 17, v221
	s_barrier
	s_and_saveexec_b64 s[24:25], vcc
	s_cbranch_execz .LBB0_7
; %bb.6:
	v_mul_f64 v[242:243], v[200:201], s[14:15]
	v_add_f64 v[218:219], v[218:219], v[242:243]
	v_mul_f64 v[242:243], v[180:181], s[16:17]
	v_add_f64 v[206:207], v[206:207], v[242:243]
	v_mul_f64 v[242:243], v[172:173], s[10:11]
	v_add_f64 v[202:203], v[202:203], v[242:243]
	v_mul_f64 v[242:243], v[164:165], s[18:19]
	v_add_f64 v[168:169], v[168:169], v[242:243]
	v_mul_f64 v[242:243], v[158:159], s[6:7]
	v_add_f64 v[110:111], v[110:111], v[242:243]
	v_mul_f64 v[242:243], v[148:149], s[20:21]
	v_add_f64 v[106:107], v[106:107], v[242:243]
	v_mul_f64 v[242:243], v[142:143], s[0:1]
	v_add_f64 v[12:13], v[12:13], v[242:243]
	v_mul_f64 v[242:243], v[130:131], s[22:23]
	v_add_f64 v[144:145], v[144:145], v[242:243]
	v_add_f64 v[144:145], v[34:35], v[144:145]
	v_add_f64 v[12:13], v[12:13], v[144:145]
	;; [unrolled: 1-line block ×4, first 2 shown]
	v_mul_f64 v[110:111], v[176:177], s[16:17]
	v_add_f64 v[108:109], v[110:111], -v[108:109]
	v_mul_f64 v[110:111], v[170:171], s[10:11]
	v_add_f64 v[14:15], v[110:111], -v[14:15]
	;; [unrolled: 2-line block ×7, first 2 shown]
	v_add_f64 v[8:9], v[32:33], v[8:9]
	v_add_f64 v[8:9], v[10:11], v[8:9]
	;; [unrolled: 1-line block ×8, first 2 shown]
	v_mul_f64 v[104:105], v[130:131], s[20:21]
	v_add_f64 v[8:9], v[14:15], v[8:9]
	v_add_f64 v[102:103], v[218:219], v[12:13]
	v_mul_f64 v[12:13], v[158:159], s[18:19]
	v_mul_f64 v[14:15], v[142:143], s[10:11]
	v_add_f64 v[104:105], v[254:255], v[104:105]
	v_mul_f64 v[106:107], v[192:193], s[14:15]
	v_mul_f64 v[10:11], v[180:181], s[6:7]
	v_add_f64 v[2:3], v[2:3], v[12:13]
	v_mul_f64 v[12:13], v[148:149], s[14:15]
	v_add_f64 v[14:15], v[124:125], v[14:15]
	v_add_f64 v[104:105], v[34:35], v[104:105]
	v_add_f64 v[106:107], v[106:107], -v[166:167]
	v_add_f64 v[8:9], v[108:109], v[8:9]
	v_add_f64 v[6:7], v[6:7], v[10:11]
	v_mul_f64 v[10:11], v[172:173], s[22:23]
	v_add_f64 v[12:13], v[132:133], v[12:13]
	v_add_f64 v[14:15], v[14:15], v[104:105]
	;; [unrolled: 1-line block ×4, first 2 shown]
	v_mul_f64 v[10:11], v[164:165], s[0:1]
	v_add_f64 v[12:13], v[12:13], v[14:15]
	v_mul_f64 v[106:107], v[128:129], s[20:21]
	v_add_f64 v[10:11], v[136:137], v[10:11]
	v_add_f64 v[2:3], v[2:3], v[12:13]
	v_mul_f64 v[104:105], v[140:141], s[10:11]
	v_add_f64 v[106:107], v[106:107], -v[118:119]
	v_add_f64 v[2:3], v[10:11], v[2:3]
	v_mul_f64 v[14:15], v[146:147], s[14:15]
	v_add_f64 v[104:105], v[104:105], -v[250:251]
	v_add_f64 v[106:107], v[32:33], v[106:107]
	v_add_f64 v[2:3], v[4:5], v[2:3]
	v_mul_f64 v[12:13], v[156:157], s[18:19]
	v_add_f64 v[14:15], v[14:15], -v[252:253]
	v_add_f64 v[104:105], v[104:105], v[106:107]
	v_add_f64 v[2:3], v[6:7], v[2:3]
	v_mul_f64 v[6:7], v[176:177], s[6:7]
	v_mul_f64 v[10:11], v[162:163], s[0:1]
	v_add_f64 v[12:13], v[12:13], -v[120:121]
	v_add_f64 v[14:15], v[14:15], v[104:105]
	v_add_f64 v[0:1], v[6:7], -v[0:1]
	v_mul_f64 v[6:7], v[170:171], s[22:23]
	v_add_f64 v[10:11], v[10:11], -v[122:123]
	v_add_f64 v[12:13], v[12:13], v[14:15]
	v_mul_f64 v[14:15], v[130:131], s[18:19]
	v_mul_f64 v[8:9], v[200:201], s[16:17]
	v_add_f64 v[6:7], v[6:7], -v[126:127]
	v_add_f64 v[10:11], v[10:11], v[12:13]
	v_mul_f64 v[12:13], v[142:143], s[16:17]
	v_add_f64 v[14:15], v[224:225], v[14:15]
	v_mul_f64 v[110:111], v[128:129], s[18:19]
	v_add_f64 v[8:9], v[138:139], v[8:9]
	v_add_f64 v[6:7], v[6:7], v[10:11]
	v_mul_f64 v[10:11], v[148:149], s[0:1]
	v_add_f64 v[12:13], v[228:229], v[12:13]
	v_add_f64 v[14:15], v[34:35], v[14:15]
	v_mul_f64 v[108:109], v[140:141], s[16:17]
	v_add_f64 v[110:111], v[110:111], -v[212:213]
	v_mul_f64 v[4:5], v[192:193], s[16:17]
	v_add_f64 v[106:107], v[8:9], v[2:3]
	v_mul_f64 v[8:9], v[158:159], s[20:21]
	v_add_f64 v[10:11], v[232:233], v[10:11]
	v_add_f64 v[12:13], v[12:13], v[14:15]
	v_mul_f64 v[14:15], v[146:147], s[0:1]
	v_add_f64 v[108:109], v[108:109], -v[214:215]
	v_add_f64 v[110:111], v[32:33], v[110:111]
	v_add_f64 v[4:5], v[4:5], -v[134:135]
	v_add_f64 v[0:1], v[0:1], v[6:7]
	v_mul_f64 v[6:7], v[164:165], s[14:15]
	v_add_f64 v[8:9], v[236:237], v[8:9]
	v_add_f64 v[10:11], v[10:11], v[12:13]
	v_mul_f64 v[12:13], v[156:157], s[20:21]
	v_add_f64 v[14:15], v[14:15], -v[216:217]
	v_add_f64 v[108:109], v[108:109], v[110:111]
	v_add_f64 v[104:105], v[4:5], v[0:1]
	v_mul_f64 v[0:1], v[200:201], s[10:11]
	v_mul_f64 v[4:5], v[172:173], s[6:7]
	v_add_f64 v[6:7], v[240:241], v[6:7]
	v_add_f64 v[8:9], v[8:9], v[10:11]
	v_mul_f64 v[10:11], v[162:163], s[14:15]
	v_add_f64 v[12:13], v[12:13], -v[222:223]
	v_add_f64 v[14:15], v[14:15], v[108:109]
	v_add_f64 v[0:1], v[116:117], v[0:1]
	v_mul_f64 v[2:3], v[180:181], s[22:23]
	v_add_f64 v[4:5], v[244:245], v[4:5]
	v_add_f64 v[6:7], v[6:7], v[8:9]
	v_mul_f64 v[8:9], v[170:171], s[6:7]
	v_add_f64 v[10:11], v[10:11], -v[226:227]
	v_add_f64 v[12:13], v[12:13], v[14:15]
	v_mul_f64 v[14:15], v[130:131], s[16:17]
	v_mul_f64 v[116:117], v[140:141], s[20:21]
	v_add_f64 v[2:3], v[248:249], v[2:3]
	v_add_f64 v[4:5], v[4:5], v[6:7]
	v_mul_f64 v[6:7], v[176:177], s[22:23]
	v_add_f64 v[8:9], v[8:9], -v[230:231]
	v_add_f64 v[10:11], v[10:11], v[12:13]
	v_mul_f64 v[12:13], v[142:143], s[20:21]
	v_add_f64 v[14:15], v[178:179], v[14:15]
	v_add_f64 v[114:115], v[116:117], -v[114:115]
	v_mul_f64 v[116:117], v[128:129], s[16:17]
	v_add_f64 v[2:3], v[2:3], v[4:5]
	v_mul_f64 v[4:5], v[192:193], s[10:11]
	v_add_f64 v[6:7], v[6:7], -v[234:235]
	v_add_f64 v[8:9], v[8:9], v[10:11]
	v_mul_f64 v[10:11], v[148:149], s[6:7]
	v_add_f64 v[12:13], v[184:185], v[12:13]
	v_add_f64 v[14:15], v[34:35], v[14:15]
	v_add_f64 v[112:113], v[116:117], -v[112:113]
	v_add_f64 v[4:5], v[4:5], -v[238:239]
	v_add_f64 v[6:7], v[6:7], v[8:9]
	v_mul_f64 v[8:9], v[158:159], s[10:11]
	v_add_f64 v[10:11], v[188:189], v[10:11]
	v_add_f64 v[12:13], v[12:13], v[14:15]
	v_mul_f64 v[14:15], v[146:147], s[6:7]
	v_add_f64 v[112:113], v[32:33], v[112:113]
	;; [unrolled: 3-line block ×3, first 2 shown]
	v_add_f64 v[10:11], v[10:11], v[12:13]
	v_mul_f64 v[12:13], v[156:157], s[10:11]
	v_add_f64 v[14:15], v[14:15], -v[160:161]
	v_add_f64 v[112:113], v[114:115], v[112:113]
	v_mul_f64 v[4:5], v[172:173], s[14:15]
	v_add_f64 v[6:7], v[198:199], v[6:7]
	v_add_f64 v[8:9], v[8:9], v[10:11]
	v_mul_f64 v[10:11], v[162:163], s[22:23]
	v_add_f64 v[12:13], v[12:13], -v[174:175]
	v_add_f64 v[14:15], v[14:15], v[112:113]
	v_add_f64 v[110:111], v[0:1], v[2:3]
	v_mul_f64 v[2:3], v[180:181], s[0:1]
	v_add_f64 v[4:5], v[204:205], v[4:5]
	v_add_f64 v[6:7], v[6:7], v[8:9]
	v_mul_f64 v[8:9], v[170:171], s[14:15]
	v_add_f64 v[10:11], v[10:11], -v[182:183]
	v_add_f64 v[12:13], v[12:13], v[14:15]
	v_add_f64 v[2:3], v[208:209], v[2:3]
	;; [unrolled: 1-line block ×3, first 2 shown]
	v_mul_f64 v[6:7], v[176:177], s[0:1]
	v_add_f64 v[8:9], v[8:9], -v[186:187]
	v_add_f64 v[10:11], v[10:11], v[12:13]
	v_add_f64 v[2:3], v[2:3], v[4:5]
	v_mul_f64 v[4:5], v[192:193], s[18:19]
	v_add_f64 v[6:7], v[6:7], -v[190:191]
	v_add_f64 v[8:9], v[8:9], v[10:11]
	v_add_f64 v[4:5], v[4:5], -v[196:197]
	v_add_f64 v[6:7], v[6:7], v[8:9]
	v_add_f64 v[112:113], v[4:5], v[6:7]
	v_accvgpr_read_b32 v6, a142
	v_mul_f64 v[4:5], v[172:173], s[20:21]
	v_accvgpr_read_b32 v7, a143
	v_accvgpr_read_b32 v8, a140
	v_add_f64 v[4:5], v[6:7], v[4:5]
	v_mul_f64 v[6:7], v[164:165], s[10:11]
	v_accvgpr_read_b32 v9, a141
	v_accvgpr_read_b32 v10, a136
	v_add_f64 v[6:7], v[8:9], v[6:7]
	;; [unrolled: 4-line block ×5, first 2 shown]
	v_mul_f64 v[14:15], v[130:131], s[14:15]
	v_accvgpr_read_b32 v117, a125
	v_add_f64 v[14:15], v[116:117], v[14:15]
	v_add_f64 v[14:15], v[34:35], v[14:15]
	;; [unrolled: 1-line block ×3, first 2 shown]
	v_mul_f64 v[0:1], v[200:201], s[18:19]
	v_add_f64 v[10:11], v[10:11], v[12:13]
	v_add_f64 v[0:1], v[210:211], v[0:1]
	;; [unrolled: 1-line block ×4, first 2 shown]
	v_mul_f64 v[2:3], v[180:181], s[18:19]
	v_add_f64 v[6:7], v[6:7], v[8:9]
	v_add_f64 v[2:3], v[150:151], v[2:3]
	;; [unrolled: 1-line block ×3, first 2 shown]
	v_accvgpr_read_b32 v6, a138
	v_add_f64 v[2:3], v[2:3], v[4:5]
	v_mul_f64 v[4:5], v[192:193], s[6:7]
	v_accvgpr_read_b32 v7, a139
	v_accvgpr_read_b32 v8, a134
	v_add_f64 v[4:5], v[4:5], -v[6:7]
	v_mul_f64 v[6:7], v[176:177], s[18:19]
	v_accvgpr_read_b32 v9, a135
	v_accvgpr_read_b32 v10, a130
	v_add_f64 v[6:7], v[6:7], -v[8:9]
	v_mul_f64 v[8:9], v[170:171], s[20:21]
	v_accvgpr_read_b32 v11, a131
	v_accvgpr_read_b32 v12, a126
	v_add_f64 v[8:9], v[8:9], -v[10:11]
	v_mul_f64 v[10:11], v[162:163], s[10:11]
	v_accvgpr_read_b32 v13, a127
	v_accvgpr_read_b32 v14, a122
	v_add_f64 v[10:11], v[10:11], -v[12:13]
	v_mul_f64 v[12:13], v[156:157], s[0:1]
	v_accvgpr_read_b32 v15, a123
	v_accvgpr_read_b32 v116, a120
	v_add_f64 v[12:13], v[12:13], -v[14:15]
	v_mul_f64 v[14:15], v[146:147], s[16:17]
	v_accvgpr_read_b32 v117, a121
	v_accvgpr_read_b32 v118, a118
	v_add_f64 v[14:15], v[14:15], -v[116:117]
	v_mul_f64 v[116:117], v[140:141], s[22:23]
	v_accvgpr_read_b32 v119, a119
	v_accvgpr_read_b32 v121, a117
	v_add_f64 v[116:117], v[116:117], -v[118:119]
	v_mul_f64 v[118:119], v[128:129], s[14:15]
	v_accvgpr_read_b32 v120, a116
	v_add_f64 v[118:119], v[118:119], -v[120:121]
	v_add_f64 v[118:119], v[32:33], v[118:119]
	v_add_f64 v[116:117], v[116:117], v[118:119]
	;; [unrolled: 1-line block ×4, first 2 shown]
	v_mul_f64 v[0:1], v[200:201], s[6:7]
	v_add_f64 v[10:11], v[10:11], v[12:13]
	v_add_f64 v[0:1], v[154:155], v[0:1]
	;; [unrolled: 1-line block ×5, first 2 shown]
	v_accvgpr_read_b32 v2, a114
	v_add_f64 v[116:117], v[4:5], v[6:7]
	v_mul_f64 v[0:1], v[200:201], s[20:21]
	v_accvgpr_read_b32 v3, a115
	v_accvgpr_read_b32 v4, a112
	v_add_f64 v[0:1], v[2:3], v[0:1]
	v_mul_f64 v[2:3], v[180:181], s[14:15]
	v_accvgpr_read_b32 v5, a113
	v_accvgpr_read_b32 v6, a110
	v_add_f64 v[2:3], v[4:5], v[2:3]
	v_mul_f64 v[4:5], v[172:173], s[0:1]
	v_accvgpr_read_b32 v7, a111
	v_accvgpr_read_b32 v8, a108
	v_add_f64 v[4:5], v[6:7], v[4:5]
	v_mul_f64 v[6:7], v[164:165], s[6:7]
	v_accvgpr_read_b32 v9, a109
	v_accvgpr_read_b32 v10, a106
	v_add_f64 v[6:7], v[8:9], v[6:7]
	v_mul_f64 v[8:9], v[158:159], s[16:17]
	v_accvgpr_read_b32 v11, a107
	v_accvgpr_read_b32 v12, a104
	v_add_f64 v[8:9], v[10:11], v[8:9]
	v_mul_f64 v[10:11], v[148:149], s[22:23]
	v_accvgpr_read_b32 v13, a105
	v_accvgpr_read_b32 v14, a100
	v_add_f64 v[10:11], v[12:13], v[10:11]
	v_mul_f64 v[12:13], v[142:143], s[18:19]
	v_accvgpr_read_b32 v15, a101
	v_accvgpr_read_b32 v121, a99
	v_add_f64 v[12:13], v[14:15], v[12:13]
	v_mul_f64 v[14:15], v[130:131], s[10:11]
	v_accvgpr_read_b32 v120, a98
	v_add_f64 v[14:15], v[120:121], v[14:15]
	v_add_f64 v[14:15], v[34:35], v[14:15]
	;; [unrolled: 1-line block ×6, first 2 shown]
	v_mul_f64 v[14:15], v[130:131], s[0:1]
	v_mul_f64 v[122:123], v[130:131], s[6:7]
	v_add_f64 v[4:5], v[4:5], v[6:7]
	v_accvgpr_read_b32 v131, a103
	v_add_f64 v[2:3], v[2:3], v[4:5]
	v_mul_f64 v[4:5], v[192:193], s[20:21]
	v_accvgpr_read_b32 v130, a102
	v_accvgpr_read_b32 v133, a97
	v_add_f64 v[4:5], v[4:5], -v[130:131]
	v_mul_f64 v[130:131], v[176:177], s[14:15]
	v_accvgpr_read_b32 v132, a96
	v_accvgpr_read_b32 v135, a95
	v_add_f64 v[130:131], v[130:131], -v[132:133]
	;; [unrolled: 4-line block ×3, first 2 shown]
	v_mul_f64 v[134:135], v[162:163], s[6:7]
	v_accvgpr_read_b32 v136, a92
	v_accvgpr_read_b32 v139, a91
	v_mul_f64 v[120:121], v[128:129], s[0:1]
	v_mul_f64 v[12:13], v[128:129], s[6:7]
	v_mul_f64 v[124:125], v[128:129], s[10:11]
	v_mul_f64 v[126:127], v[140:141], s[6:7]
	v_mul_f64 v[8:9], v[142:143], s[6:7]
	v_mul_f64 v[10:11], v[140:141], s[14:15]
	v_mul_f64 v[6:7], v[142:143], s[14:15]
	v_mul_f64 v[128:129], v[140:141], s[18:19]
	v_add_f64 v[134:135], v[134:135], -v[136:137]
	v_mul_f64 v[136:137], v[156:157], s[16:17]
	v_accvgpr_read_b32 v138, a90
	v_accvgpr_read_b32 v141, a89
	;; [unrolled: 1-line block ×3, first 2 shown]
	v_add_f64 v[136:137], v[136:137], -v[138:139]
	v_mul_f64 v[138:139], v[146:147], s[22:23]
	v_accvgpr_read_b32 v140, a88
	v_accvgpr_read_b32 v142, a86
	v_add_f64 v[138:139], v[138:139], -v[140:141]
	v_mul_f64 v[140:141], v[146:147], s[10:11]
	v_add_f64 v[128:129], v[128:129], -v[142:143]
	v_mul_f64 v[142:143], v[148:149], s[10:11]
	v_mul_f64 v[144:145], v[146:147], s[18:19]
	;; [unrolled: 1-line block ×3, first 2 shown]
	v_accvgpr_read_b32 v149, a85
	v_accvgpr_read_b32 v148, a84
	v_add_f64 v[124:125], v[124:125], -v[148:149]
	v_add_f64 v[124:125], v[32:33], v[124:125]
	v_add_f64 v[124:125], v[128:129], v[124:125]
	;; [unrolled: 1-line block ×3, first 2 shown]
	v_accvgpr_read_b32 v175, a81
	v_mul_f64 v[128:129], v[158:159], s[14:15]
	v_mul_f64 v[154:155], v[158:159], s[22:23]
	v_add_f64 v[124:125], v[136:137], v[124:125]
	v_mul_f64 v[136:137], v[164:165], s[16:17]
	v_mul_f64 v[158:159], v[164:165], s[20:21]
	;; [unrolled: 1-line block ×3, first 2 shown]
	v_accvgpr_read_b32 v174, a80
	v_add_f64 v[164:165], v[174:175], v[164:165]
	v_accvgpr_read_b32 v175, a79
	v_mul_f64 v[148:149], v[156:157], s[14:15]
	v_mul_f64 v[150:151], v[156:157], s[22:23]
	;; [unrolled: 1-line block ×5, first 2 shown]
	v_accvgpr_read_b32 v174, a78
	v_add_f64 v[162:163], v[174:175], v[162:163]
	v_accvgpr_read_b32 v175, a75
	v_accvgpr_read_b32 v174, a74
	v_add_f64 v[158:159], v[174:175], v[158:159]
	v_accvgpr_read_b32 v175, a71
	;; [unrolled: 3-line block ×5, first 2 shown]
	v_accvgpr_read_b32 v174, a60
	v_add_f64 v[122:123], v[174:175], v[122:123]
	v_add_f64 v[122:123], v[34:35], v[122:123]
	;; [unrolled: 1-line block ×5, first 2 shown]
	v_accvgpr_read_b32 v155, a65
	v_accvgpr_read_b32 v154, a64
	v_add_f64 v[154:155], v[156:157], -v[154:155]
	v_accvgpr_read_b32 v157, a59
	v_accvgpr_read_b32 v156, a58
	v_add_f64 v[150:151], v[150:151], -v[156:157]
	;; [unrolled: 3-line block ×4, first 2 shown]
	v_accvgpr_read_b32 v157, a53
	v_add_f64 v[124:125], v[134:135], v[124:125]
	v_accvgpr_read_b32 v156, a52
	v_add_f64 v[124:125], v[132:133], v[124:125]
	v_add_f64 v[12:13], v[12:13], -v[156:157]
	v_add_f64 v[124:125], v[130:131], v[124:125]
	v_accvgpr_read_b32 v147, a73
	v_add_f64 v[12:13], v[32:33], v[12:13]
	v_add_f64 v[2:3], v[0:1], v[2:3]
	;; [unrolled: 1-line block ×3, first 2 shown]
	v_mul_f64 v[4:5], v[176:177], s[10:11]
	v_accvgpr_read_b32 v146, a72
	v_add_f64 v[10:11], v[10:11], v[12:13]
	v_add_f64 v[4:5], v[4:5], -v[146:147]
	v_accvgpr_read_b32 v147, a69
	v_add_f64 v[10:11], v[144:145], v[10:11]
	v_mul_f64 v[160:161], v[170:171], s[16:17]
	v_accvgpr_read_b32 v146, a68
	v_add_f64 v[10:11], v[150:151], v[10:11]
	v_accvgpr_read_b32 v12, a46
	v_mul_f64 v[124:125], v[180:181], s[20:21]
	v_accvgpr_read_b32 v123, a77
	v_add_f64 v[146:147], v[160:161], -v[146:147]
	v_add_f64 v[10:11], v[154:155], v[10:11]
	v_accvgpr_read_b32 v13, a47
	v_mul_f64 v[132:133], v[172:173], s[18:19]
	v_mul_f64 v[172:173], v[192:193], s[0:1]
	v_accvgpr_read_b32 v122, a76
	v_add_f64 v[10:11], v[146:147], v[10:11]
	v_add_f64 v[12:13], v[12:13], v[124:125]
	v_accvgpr_read_b32 v125, a39
	v_add_f64 v[122:123], v[172:173], -v[122:123]
	v_add_f64 v[4:5], v[4:5], v[10:11]
	v_accvgpr_read_b32 v124, a38
	v_add_f64 v[4:5], v[122:123], v[4:5]
	v_accvgpr_read_b32 v123, a43
	;; [unrolled: 2-line block ×3, first 2 shown]
	v_accvgpr_read_b32 v122, a42
	v_accvgpr_read_b32 v136, a26
	v_add_f64 v[122:123], v[122:123], v[132:133]
	v_accvgpr_read_b32 v133, a35
	v_add_f64 v[8:9], v[136:137], v[8:9]
	v_accvgpr_read_b32 v137, a23
	v_accvgpr_read_b32 v132, a34
	;; [unrolled: 1-line block ×3, first 2 shown]
	v_add_f64 v[128:129], v[132:133], v[128:129]
	v_accvgpr_read_b32 v133, a31
	v_add_f64 v[14:15], v[136:137], v[14:15]
	v_accvgpr_read_b32 v132, a30
	v_add_f64 v[14:15], v[34:35], v[14:15]
	v_add_f64 v[132:133], v[132:133], v[142:143]
	;; [unrolled: 1-line block ×8, first 2 shown]
	v_accvgpr_read_b32 v12, a44
	v_mul_f64 v[130:131], v[176:177], s[20:21]
	v_accvgpr_read_b32 v13, a45
	v_add_f64 v[12:13], v[130:131], -v[12:13]
	v_accvgpr_read_b32 v131, a25
	v_accvgpr_read_b32 v130, a24
	v_add_f64 v[126:127], v[126:127], -v[130:131]
	v_accvgpr_read_b32 v131, a21
	v_accvgpr_read_b32 v130, a20
	v_accvgpr_read_b32 v129, a29
	v_add_f64 v[120:121], v[120:121], -v[130:131]
	v_accvgpr_read_b32 v125, a33
	v_accvgpr_read_b32 v128, a28
	v_add_f64 v[120:121], v[32:33], v[120:121]
	v_accvgpr_read_b32 v10, a50
	v_accvgpr_read_b32 v123, a37
	;; [unrolled: 1-line block ×3, first 2 shown]
	v_add_f64 v[128:129], v[140:141], -v[128:129]
	v_add_f64 v[120:121], v[126:127], v[120:121]
	v_mul_f64 v[134:135], v[170:171], s[18:19]
	v_mul_f64 v[170:171], v[200:201], s[22:23]
	v_accvgpr_read_b32 v11, a51
	v_accvgpr_read_b32 v14, a40
	v_accvgpr_read_b32 v122, a36
	v_add_f64 v[124:125], v[148:149], -v[124:125]
	v_add_f64 v[120:121], v[128:129], v[120:121]
	v_accvgpr_read_b32 v169, a83
	v_add_f64 v[10:11], v[10:11], v[170:171]
	v_accvgpr_read_b32 v15, a41
	v_add_f64 v[122:123], v[138:139], -v[122:123]
	v_add_f64 v[120:121], v[124:125], v[120:121]
	v_mul_f64 v[166:167], v[200:201], s[0:1]
	v_accvgpr_read_b32 v168, a82
	v_add_f64 v[10:11], v[10:11], v[8:9]
	v_accvgpr_read_b32 v8, a48
	v_add_f64 v[14:15], v[134:135], -v[14:15]
	v_add_f64 v[120:121], v[122:123], v[120:121]
	v_add_f64 v[166:167], v[168:169], v[166:167]
	v_mul_f64 v[168:169], v[192:193], s[22:23]
	v_accvgpr_read_b32 v9, a49
	v_add_f64 v[14:15], v[14:15], v[120:121]
	v_add_f64 v[8:9], v[168:169], -v[8:9]
	v_add_f64 v[12:13], v[12:13], v[14:15]
	v_add_f64 v[8:9], v[8:9], v[12:13]
	;; [unrolled: 1-line block ×35, first 2 shown]
	v_accvgpr_read_b32 v32, a1
	v_add_f64 v[6:7], v[164:165], v[6:7]
	v_add_f64 v[12:13], v[12:13], v[96:97]
	v_add_lshl_u32 v32, v32, v220, 4
	v_add_f64 v[6:7], v[166:167], v[6:7]
	ds_write_b128 v32, v[12:15]
	ds_write_b128 v32, v[8:11] offset:16
	ds_write_b128 v32, v[4:7] offset:32
	ds_write_b128 v32, v[0:3] offset:48
	ds_write_b128 v32, v[116:119] offset:64
	ds_write_b128 v32, v[112:115] offset:80
	ds_write_b128 v32, v[108:111] offset:96
	ds_write_b128 v32, v[104:107] offset:112
	ds_write_b128 v32, v[100:103] offset:128
	ds_write_b128 v32, v[28:31] offset:144
	ds_write_b128 v32, a[16:19] offset:160
	ds_write_b128 v32, a[12:15] offset:176
	ds_write_b128 v32, v[16:19] offset:192
	ds_write_b128 v32, v[24:27] offset:208
	ds_write_b128 v32, v[20:23] offset:224
	ds_write_b128 v32, a[8:11] offset:240
	ds_write_b128 v32, a[4:7] offset:256
.LBB0_7:
	s_or_b64 exec, exec, s[24:25]
	v_lshlrev_b32_e32 v0, 7, v221
	s_load_dwordx4 s[0:3], s[2:3], 0x0
	s_waitcnt lgkmcnt(0)
	s_barrier
	global_load_dwordx4 v[44:47], v0, s[4:5]
	global_load_dwordx4 v[40:43], v0, s[4:5] offset:16
	global_load_dwordx4 v[36:39], v0, s[4:5] offset:32
	;; [unrolled: 1-line block ×7, first 2 shown]
	v_accvgpr_read_b32 v0, a1
	v_add_lshl_u32 v5, v0, v221, 4
	ds_read_b128 v[0:3], v5
	ds_read_b128 v[6:9], v5 offset:272
	ds_read_b128 v[10:13], v5 offset:544
	;; [unrolled: 1-line block ×8, first 2 shown]
	s_mov_b32 s14, 0xa2cf5039
	s_mov_b32 s5, 0x3fe491b7
	;; [unrolled: 1-line block ×16, first 2 shown]
	s_waitcnt vmcnt(7) lgkmcnt(7)
	v_mul_f64 v[14:15], v[8:9], v[46:47]
	v_mul_f64 v[88:89], v[6:7], v[46:47]
	s_waitcnt vmcnt(6) lgkmcnt(6)
	v_mul_f64 v[92:93], v[10:11], v[42:43]
	s_waitcnt vmcnt(4) lgkmcnt(4)
	v_mul_f64 v[98:99], v[70:71], v[34:35]
	v_mul_f64 v[90:91], v[12:13], v[42:43]
	;; [unrolled: 1-line block ×4, first 2 shown]
	s_waitcnt vmcnt(0) lgkmcnt(0)
	v_mul_f64 v[114:115], v[86:87], v[50:51]
	v_mul_f64 v[116:117], v[84:85], v[50:51]
	;; [unrolled: 1-line block ×6, first 2 shown]
	v_fma_f64 v[6:7], v[6:7], v[44:45], -v[14:15]
	v_fmac_f64_e32 v[88:89], v[8:9], v[44:45]
	v_fmac_f64_e32 v[92:93], v[12:13], v[40:41]
	v_fma_f64 v[12:13], v[68:69], v[32:33], -v[98:99]
	v_fma_f64 v[68:69], v[84:85], v[48:49], -v[114:115]
	v_fmac_f64_e32 v[116:117], v[86:87], v[48:49]
	v_mul_f64 v[102:103], v[74:75], v[62:63]
	v_mul_f64 v[108:109], v[76:77], v[58:59]
	v_fma_f64 v[8:9], v[10:11], v[40:41], -v[90:91]
	v_fma_f64 v[10:11], v[64:65], v[36:37], -v[94:95]
	v_fmac_f64_e32 v[96:97], v[66:67], v[36:37]
	v_fma_f64 v[64:65], v[76:77], v[56:57], -v[106:107]
	v_fma_f64 v[66:67], v[80:81], v[52:53], -v[110:111]
	v_fmac_f64_e32 v[112:113], v[82:83], v[52:53]
	v_add_f64 v[94:95], v[6:7], v[68:69]
	v_add_f64 v[80:81], v[88:89], -v[116:117]
	v_mul_f64 v[104:105], v[72:73], v[62:63]
	v_fmac_f64_e32 v[100:101], v[70:71], v[32:33]
	v_fma_f64 v[14:15], v[72:73], v[60:61], -v[102:103]
	v_fmac_f64_e32 v[108:109], v[78:79], v[56:57]
	v_add_f64 v[102:103], v[8:9], v[66:67]
	v_add_f64 v[110:111], v[10:11], v[64:65]
	v_add_f64 v[82:83], v[92:93], -v[112:113]
	v_add_f64 v[10:11], v[10:11], -v[64:65]
	v_mul_f64 v[70:71], v[80:81], s[4:5]
	v_fma_f64 v[64:65], s[14:15], v[94:95], v[0:1]
	v_fmac_f64_e32 v[104:105], v[74:75], v[60:61]
	v_add_f64 v[106:107], v[92:93], v[112:113]
	v_add_f64 v[92:93], v[96:97], -v[108:109]
	v_fmac_f64_e32 v[70:71], s[6:7], v[82:83]
	v_fmac_f64_e32 v[64:65], s[18:19], v[102:103]
	v_add_f64 v[98:99], v[88:89], v[116:117]
	v_add_f64 v[114:115], v[96:97], v[108:109]
	v_add_f64 v[6:7], v[6:7], -v[68:69]
	v_add_f64 v[108:109], v[100:101], -v[104:105]
	v_fmac_f64_e32 v[70:71], s[10:11], v[92:93]
	v_fmac_f64_e32 v[64:65], -0.5, v[110:111]
	v_add_f64 v[112:113], v[12:13], v[14:15]
	v_add_f64 v[8:9], v[8:9], -v[66:67]
	v_mul_f64 v[68:69], v[6:7], s[4:5]
	v_fmac_f64_e32 v[70:71], s[16:17], v[108:109]
	v_fma_f64 v[66:67], s[14:15], v[98:99], v[2:3]
	v_fmac_f64_e32 v[64:65], s[20:21], v[112:113]
	v_add_f64 v[96:97], v[12:13], -v[14:15]
	v_fmac_f64_e32 v[68:69], s[6:7], v[8:9]
	v_fmac_f64_e32 v[66:67], s[18:19], v[106:107]
	v_add_f64 v[116:117], v[100:101], v[104:105]
	v_add_f64 v[64:65], v[70:71], v[64:65]
	s_mov_b32 s5, 0xbfe491b7
	v_fmac_f64_e32 v[68:69], s[10:11], v[10:11]
	v_fmac_f64_e32 v[66:67], -0.5, v[114:115]
	v_fma_f64 v[72:73], -2.0, v[70:71], v[64:65]
	v_mul_f64 v[76:77], v[96:97], s[4:5]
	v_fma_f64 v[70:71], s[14:15], v[116:117], v[2:3]
	v_fmac_f64_e32 v[68:69], s[16:17], v[96:97]
	v_fmac_f64_e32 v[66:67], s[20:21], v[116:117]
	;; [unrolled: 1-line block ×4, first 2 shown]
	v_add_f64 v[66:67], v[66:67], -v[68:69]
	v_fmac_f64_e32 v[76:77], s[22:23], v[10:11]
	v_fmac_f64_e32 v[70:71], -0.5, v[114:115]
	v_fma_f64 v[74:75], 2.0, v[68:69], v[66:67]
	v_mul_f64 v[78:79], v[108:109], s[4:5]
	v_fmac_f64_e32 v[76:77], s[16:17], v[8:9]
	v_fma_f64 v[68:69], s[14:15], v[112:113], v[0:1]
	v_fmac_f64_e32 v[70:71], s[20:21], v[106:107]
	v_fmac_f64_e32 v[78:79], s[6:7], v[80:81]
	;; [unrolled: 1-line block ×3, first 2 shown]
	v_add_f64 v[70:71], v[70:71], -v[76:77]
	v_fmac_f64_e32 v[78:79], s[22:23], v[92:93]
	v_fmac_f64_e32 v[68:69], -0.5, v[110:111]
	v_fma_f64 v[86:87], 2.0, v[76:77], v[70:71]
	v_add_f64 v[76:77], v[96:97], v[6:7]
	v_mul_f64 v[96:97], v[96:97], s[6:7]
	v_fmac_f64_e32 v[78:79], s[16:17], v[82:83]
	v_fmac_f64_e32 v[68:69], s[20:21], v[102:103]
	v_add_f64 v[88:89], v[76:77], -v[8:9]
	v_fma_f64 v[8:9], v[8:9], s[4:5], -v[96:97]
	v_add_f64 v[68:69], v[78:79], v[68:69]
	v_add_f64 v[122:123], v[102:103], v[94:95]
	;; [unrolled: 1-line block ×3, first 2 shown]
	v_fmac_f64_e32 v[8:9], s[10:11], v[10:11]
	v_fma_f64 v[84:85], -2.0, v[78:79], v[68:69]
	v_add_f64 v[78:79], v[108:109], v[80:81]
	v_mul_f64 v[108:109], v[108:109], s[6:7]
	v_fmac_f64_e32 v[8:9], s[16:17], v[6:7]
	v_add_f64 v[6:7], v[110:111], v[122:123]
	v_add_f64 v[10:11], v[114:115], v[124:125]
	v_fma_f64 v[96:97], v[82:83], s[4:5], -v[108:109]
	v_add_f64 v[6:7], v[12:13], v[6:7]
	v_add_f64 v[10:11], v[100:101], v[10:11]
	v_fmac_f64_e32 v[96:97], s[10:11], v[92:93]
	v_add_f64 v[6:7], v[14:15], v[6:7]
	v_add_f64 v[10:11], v[104:105], v[10:11]
	v_add_f64 v[90:91], v[78:79], -v[82:83]
	v_add_f64 v[76:77], v[0:1], v[110:111]
	v_add_f64 v[78:79], v[2:3], v[114:115]
	v_fmac_f64_e32 v[96:97], s[16:17], v[80:81]
	v_add_f64 v[80:81], v[0:1], v[6:7]
	v_add_f64 v[82:83], v[2:3], v[10:11]
	v_fmac_f64_e32 v[0:1], s[14:15], v[102:103]
	v_fmac_f64_e32 v[2:3], s[14:15], v[106:107]
	;; [unrolled: 1-line block ×4, first 2 shown]
	v_add_f64 v[126:127], v[112:113], v[122:123]
	v_add_f64 v[128:129], v[116:117], v[124:125]
	v_fmac_f64_e32 v[0:1], -0.5, v[110:111]
	v_fmac_f64_e32 v[2:3], -0.5, v[114:115]
	;; [unrolled: 1-line block ×4, first 2 shown]
	v_fmac_f64_e32 v[0:1], s[20:21], v[94:95]
	v_fmac_f64_e32 v[2:3], s[20:21], v[98:99]
	v_mul_f64 v[118:119], v[88:89], s[10:11]
	v_mul_f64 v[120:121], v[90:91], s[10:11]
	v_fmac_f64_e32 v[76:77], s[10:11], v[90:91]
	v_fmac_f64_e32 v[78:79], s[22:23], v[88:89]
	v_add_f64 v[92:93], v[96:97], v[0:1]
	v_add_f64 v[94:95], v[2:3], -v[8:9]
	v_accvgpr_read_b32 v0, a2
	v_fma_f64 v[88:89], -2.0, v[120:121], v[76:77]
	v_fma_f64 v[90:91], 2.0, v[118:119], v[78:79]
	v_fma_f64 v[96:97], -2.0, v[96:97], v[92:93]
	v_fma_f64 v[98:99], 2.0, v[8:9], v[94:95]
	v_lshl_add_u32 v4, v221, 4, v0
	ds_write_b128 v4, v[80:83]
	ds_write_b128 v4, v[64:67] offset:272
	ds_write_b128 v4, v[68:71] offset:544
	;; [unrolled: 1-line block ×8, first 2 shown]
	s_waitcnt lgkmcnt(0)
	s_barrier
	s_and_saveexec_b64 s[4:5], vcc
	s_cbranch_execz .LBB0_9
; %bb.8:
	global_load_dwordx4 v[100:103], v153, s[8:9] offset:2448
	s_add_u32 s6, s8, 0x990
	s_addc_u32 s7, s9, 0
	global_load_dwordx4 v[104:107], v153, s[6:7] offset:144
	global_load_dwordx4 v[108:111], v153, s[6:7] offset:288
	;; [unrolled: 1-line block ×12, first 2 shown]
	ds_read_b128 v[140:143], v4
	ds_read_b128 v[144:147], v4 offset:144
	global_load_dwordx4 v[148:151], v153, s[6:7] offset:1872
	ds_read_b128 v[154:157], v4 offset:288
	ds_read_b128 v[158:161], v4 offset:432
	;; [unrolled: 1-line block ×6, first 2 shown]
	global_load_dwordx4 v[178:181], v153, s[6:7] offset:2016
	ds_read_b128 v[182:185], v4 offset:1152
	ds_read_b128 v[186:189], v4 offset:1296
	;; [unrolled: 1-line block ×4, first 2 shown]
	global_load_dwordx4 v[198:201], v153, s[6:7] offset:2160
	global_load_dwordx4 v[202:205], v153, s[6:7] offset:2304
	s_waitcnt vmcnt(10) lgkmcnt(5)
	v_mul_f64 v[210:211], v[172:173], v[126:127]
	s_waitcnt vmcnt(9) lgkmcnt(4)
	v_mul_f64 v[212:213], v[176:177], v[130:131]
	;; [unrolled: 2-line block ×3, first 2 shown]
	v_mul_f64 v[14:15], v[142:143], v[102:103]
	v_mul_f64 v[208:209], v[140:141], v[102:103]
	v_fma_f64 v[206:207], v[140:141], v[100:101], -v[14:15]
	v_fmac_f64_e32 v[208:209], v[142:143], v[100:101]
	v_mul_f64 v[14:15], v[146:147], v[106:107]
	v_mul_f64 v[102:103], v[144:145], v[106:107]
	ds_write_b128 v4, v[206:209]
	v_mul_f64 v[140:141], v[156:157], v[110:111]
	v_mul_f64 v[106:107], v[154:155], v[110:111]
	;; [unrolled: 1-line block ×11, first 2 shown]
	s_waitcnt vmcnt(7) lgkmcnt(3)
	v_mul_f64 v[216:217], v[188:189], v[138:139]
	v_mul_f64 v[134:135], v[186:187], v[138:139]
	s_waitcnt vmcnt(6) lgkmcnt(2)
	v_mul_f64 v[218:219], v[192:193], v[2:3]
	v_mul_f64 v[138:139], v[190:191], v[2:3]
	v_fma_f64 v[100:101], v[144:145], v[104:105], -v[14:15]
	v_fmac_f64_e32 v[102:103], v[146:147], v[104:105]
	v_fma_f64 v[104:105], v[154:155], v[108:109], -v[140:141]
	v_fmac_f64_e32 v[106:107], v[156:157], v[108:109]
	;; [unrolled: 2-line block ×10, first 2 shown]
	ds_write_b128 v4, v[100:103] offset:144
	ds_write_b128 v4, v[104:107] offset:288
	;; [unrolled: 1-line block ×10, first 2 shown]
	ds_read_b128 v[100:103], v4 offset:1728
	s_waitcnt vmcnt(5) lgkmcnt(12)
	v_mul_f64 v[0:1], v[196:197], v[8:9]
	v_mul_f64 v[2:3], v[194:195], v[8:9]
	v_fma_f64 v[0:1], v[194:195], v[6:7], -v[0:1]
	v_fmac_f64_e32 v[2:3], v[196:197], v[6:7]
	ds_write_b128 v4, v[0:3] offset:1584
	ds_read_b128 v[0:3], v4 offset:1872
	s_waitcnt vmcnt(4) lgkmcnt(2)
	v_mul_f64 v[6:7], v[102:103], v[12:13]
	v_mul_f64 v[8:9], v[100:101], v[12:13]
	v_fma_f64 v[6:7], v[100:101], v[10:11], -v[6:7]
	v_fmac_f64_e32 v[8:9], v[102:103], v[10:11]
	ds_read_b128 v[10:13], v4 offset:2016
	ds_write_b128 v4, v[6:9] offset:1728
	s_waitcnt vmcnt(3) lgkmcnt(2)
	v_mul_f64 v[6:7], v[2:3], v[150:151]
	v_mul_f64 v[8:9], v[0:1], v[150:151]
	v_fma_f64 v[6:7], v[0:1], v[148:149], -v[6:7]
	v_fmac_f64_e32 v[8:9], v[2:3], v[148:149]
	ds_read_b128 v[0:3], v4 offset:2160
	ds_write_b128 v4, v[6:9] offset:1872
	s_waitcnt vmcnt(2) lgkmcnt(3)
	v_mul_f64 v[6:7], v[12:13], v[180:181]
	v_mul_f64 v[8:9], v[10:11], v[180:181]
	v_fma_f64 v[6:7], v[10:11], v[178:179], -v[6:7]
	v_fmac_f64_e32 v[8:9], v[12:13], v[178:179]
	ds_write_b128 v4, v[6:9] offset:2016
	ds_read_b128 v[6:9], v4 offset:2304
	s_waitcnt vmcnt(1) lgkmcnt(3)
	v_mul_f64 v[10:11], v[2:3], v[200:201]
	v_mul_f64 v[12:13], v[0:1], v[200:201]
	v_fma_f64 v[10:11], v[0:1], v[198:199], -v[10:11]
	v_fmac_f64_e32 v[12:13], v[2:3], v[198:199]
	s_waitcnt vmcnt(0) lgkmcnt(0)
	v_mul_f64 v[0:1], v[8:9], v[204:205]
	v_mul_f64 v[2:3], v[6:7], v[204:205]
	v_fma_f64 v[0:1], v[6:7], v[202:203], -v[0:1]
	v_fmac_f64_e32 v[2:3], v[8:9], v[202:203]
	ds_write_b128 v4, v[10:13] offset:2160
	ds_write_b128 v4, v[0:3] offset:2304
.LBB0_9:
	s_or_b64 exec, exec, s[4:5]
	s_waitcnt lgkmcnt(0)
	s_barrier
	s_and_saveexec_b64 s[4:5], vcc
	s_cbranch_execz .LBB0_11
; %bb.10:
	ds_read_b128 v[80:83], v4
	ds_read_b128 v[64:67], v4 offset:144
	ds_read_b128 v[68:71], v4 offset:288
	;; [unrolled: 1-line block ×16, first 2 shown]
.LBB0_11:
	s_or_b64 exec, exec, s[4:5]
	s_waitcnt lgkmcnt(0)
	s_barrier
	s_and_saveexec_b64 s[4:5], vcc
	s_cbranch_execz .LBB0_13
; %bb.12:
	v_mov_b64_e32 v[126:127], v[22:23]
	v_accvgpr_read_b32 v255, a7
	v_add_f64 v[190:191], v[76:77], -v[20:21]
	v_add_f64 v[168:169], v[78:79], v[22:23]
	v_mov_b64_e32 v[124:125], v[20:21]
	v_accvgpr_read_b32 v23, a11
	v_accvgpr_read_b32 v253, a5
	;; [unrolled: 1-line block ×3, first 2 shown]
	s_mov_b32 s34, 0xacd6c6b4
	v_accvgpr_write_b32 a20, v36
	v_accvgpr_read_b32 v21, a9
	v_accvgpr_read_b32 v20, a8
	s_mov_b32 s38, 0x5d8e7cdc
	v_accvgpr_read_b32 v254, a6
	v_add_f64 v[200:201], v[64:65], -v[252:253]
	s_mov_b32 s35, 0xbfc7851a
	s_mov_b32 s28, 0x7faef3
	v_accvgpr_write_b32 a21, v37
	v_accvgpr_write_b32 a22, v38
	;; [unrolled: 1-line block ×3, first 2 shown]
	v_accvgpr_read_b32 v39, a19
	s_mov_b32 s30, 0x4363dd80
	v_accvgpr_read_b32 v22, a10
	v_add_f64 v[198:199], v[68:69], -v[20:21]
	s_mov_b32 s39, 0x3fd71e95
	s_mov_b32 s24, 0x370991
	v_mul_f64 v[114:115], v[200:201], s[34:35]
	v_add_f64 v[176:177], v[66:67], v[254:255]
	s_mov_b32 s29, 0xbfef7484
	v_accvgpr_read_b32 v38, a18
	v_accvgpr_read_b32 v37, a17
	;; [unrolled: 1-line block ×3, first 2 shown]
	v_accvgpr_write_b32 a16, v32
	s_mov_b32 s44, 0x2a9d6da3
	s_mov_b32 s31, 0xbfe0d888
	;; [unrolled: 1-line block ×3, first 2 shown]
	v_mul_f64 v[110:111], v[198:199], s[38:39]
	v_add_f64 v[172:173], v[70:71], v[22:23]
	s_mov_b32 s25, 0x3fedd6d0
	v_fma_f64 v[116:117], s[28:29], v[176:177], v[114:115]
	v_add_f64 v[216:217], v[66:67], -v[254:255]
	v_accvgpr_write_b32 a17, v33
	v_accvgpr_write_b32 a18, v34
	;; [unrolled: 1-line block ×3, first 2 shown]
	v_accvgpr_read_b32 v35, a15
	s_mov_b32 s26, 0x6c9a05f6
	v_add_f64 v[178:179], v[92:93], -v[24:25]
	s_mov_b32 s45, 0x3fe58eea
	s_mov_b32 s18, 0x75d4884
	v_mul_f64 v[106:107], v[190:191], s[30:31]
	s_mov_b32 s23, 0xbfeb34fa
	v_fma_f64 v[112:113], s[24:25], v[172:173], v[110:111]
	v_add_f64 v[116:117], v[82:83], v[116:117]
	v_add_f64 v[214:215], v[70:71], -v[22:23]
	v_add_f64 v[196:197], v[64:65], v[252:253]
	v_mul_f64 v[132:133], v[216:217], s[34:35]
	v_accvgpr_read_b32 v33, a13
	v_accvgpr_read_b32 v32, a12
	s_mov_b32 s36, 0x7c9e640b
	v_add_f64 v[174:175], v[96:97], -v[16:17]
	s_mov_b32 s27, 0xbfe9895b
	s_mov_b32 s16, 0x6ed5f1bb
	v_mul_f64 v[104:105], v[178:179], s[44:45]
	v_add_f64 v[164:165], v[94:95], v[26:27]
	s_mov_b32 s19, 0x3fe7a5f6
	v_fma_f64 v[108:109], s[22:23], v[168:169], v[106:107]
	v_add_f64 v[112:113], v[112:113], v[116:117]
	v_add_f64 v[212:213], v[78:79], -v[126:127]
	v_accvgpr_write_b32 a4, v124
	v_add_f64 v[194:195], v[68:69], v[20:21]
	v_mul_f64 v[128:129], v[214:215], s[38:39]
	v_fma_f64 v[134:135], v[196:197], s[28:29], -v[132:133]
	s_mov_b32 s20, 0x923c349f
	v_accvgpr_read_b32 v34, a14
	v_add_f64 v[170:171], v[88:89], -v[32:33]
	s_mov_b32 s37, 0x3feca52d
	s_mov_b32 s14, 0x2b2883cd
	v_mul_f64 v[14:15], v[174:175], s[26:27]
	v_add_f64 v[160:161], v[98:99], v[18:19]
	s_mov_b32 s17, 0xbfe348c8
	v_fma_f64 v[102:103], s[18:19], v[164:165], v[104:105]
	v_add_f64 v[108:109], v[108:109], v[112:113]
	v_add_f64 v[210:211], v[94:95], -v[26:27]
	v_add_f64 v[192:193], v[76:77], v[124:125]
	v_accvgpr_write_b32 a5, v125
	v_accvgpr_write_b32 a6, v126
	;; [unrolled: 1-line block ×3, first 2 shown]
	v_mul_f64 v[124:125], v[212:213], s[30:31]
	v_fma_f64 v[130:131], v[194:195], s[24:25], -v[128:129]
	v_add_f64 v[134:135], v[80:81], v[134:135]
	s_mov_b32 s48, 0xeb564b22
	v_add_f64 v[166:167], v[84:85], -v[36:37]
	s_mov_b32 s21, 0xbfeec746
	s_mov_b32 s10, 0xc61f0d01
	v_mul_f64 v[10:11], v[170:171], s[36:37]
	v_add_f64 v[158:159], v[90:91], v[34:35]
	s_mov_b32 s15, 0x3fdc86fa
	v_fma_f64 v[100:101], s[16:17], v[160:161], v[14:15]
	v_add_f64 v[102:103], v[102:103], v[108:109]
	v_add_f64 v[208:209], v[98:99], -v[18:19]
	v_add_f64 v[188:189], v[92:93], v[24:25]
	v_mul_f64 v[120:121], v[210:211], s[44:45]
	v_fma_f64 v[126:127], v[192:193], s[22:23], -v[124:125]
	v_add_f64 v[130:131], v[130:131], v[134:135]
	v_add_f64 v[162:163], v[72:73], -v[28:29]
	s_mov_b32 s49, 0x3fefdd0d
	s_mov_b32 s6, 0x3259b75e
	v_mul_f64 v[6:7], v[166:167], s[20:21]
	v_add_f64 v[156:157], v[86:87], v[38:39]
	s_mov_b32 s11, 0xbfd183b1
	v_fma_f64 v[12:13], s[14:15], v[158:159], v[10:11]
	v_add_f64 v[100:101], v[100:101], v[102:103]
	v_add_f64 v[206:207], v[90:91], -v[34:35]
	v_add_f64 v[186:187], v[96:97], v[16:17]
	v_mul_f64 v[116:117], v[208:209], s[26:27]
	v_fma_f64 v[122:123], v[188:189], s[18:19], -v[120:121]
	v_add_f64 v[126:127], v[126:127], v[130:131]
	v_mul_f64 v[0:1], v[162:163], s[48:49]
	v_add_f64 v[154:155], v[74:75], v[30:31]
	s_mov_b32 s7, 0x3fb79ee6
	v_fma_f64 v[8:9], s[10:11], v[156:157], v[6:7]
	v_add_f64 v[12:13], v[12:13], v[100:101]
	v_add_f64 v[204:205], v[86:87], -v[38:39]
	v_add_f64 v[184:185], v[88:89], v[32:33]
	v_mul_f64 v[108:109], v[206:207], s[36:37]
	v_fma_f64 v[118:119], v[186:187], s[16:17], -v[116:117]
	v_add_f64 v[122:123], v[122:123], v[126:127]
	v_fma_f64 v[2:3], s[6:7], v[154:155], v[0:1]
	v_add_f64 v[8:9], v[8:9], v[12:13]
	v_add_f64 v[202:203], v[74:75], -v[30:31]
	v_add_f64 v[182:183], v[84:85], v[36:37]
	v_mul_f64 v[12:13], v[204:205], s[20:21]
	v_fma_f64 v[112:113], v[184:185], s[14:15], -v[108:109]
	v_add_f64 v[118:119], v[118:119], v[122:123]
	v_add_f64 v[102:103], v[2:3], v[8:9]
	;; [unrolled: 1-line block ×3, first 2 shown]
	v_mul_f64 v[2:3], v[202:203], s[48:49]
	v_fma_f64 v[100:101], v[182:183], s[10:11], -v[12:13]
	v_add_f64 v[112:113], v[112:113], v[118:119]
	v_fma_f64 v[8:9], v[180:181], s[6:7], -v[2:3]
	v_add_f64 v[100:101], v[100:101], v[112:113]
	v_add_f64 v[100:101], v[8:9], v[100:101]
	v_fma_f64 v[8:9], v[158:159], s[14:15], -v[10:11]
	v_fma_f64 v[10:11], v[160:161], s[16:17], -v[14:15]
	;; [unrolled: 1-line block ×6, first 2 shown]
	v_add_f64 v[110:111], v[82:83], v[110:111]
	v_add_f64 v[106:107], v[106:107], v[110:111]
	;; [unrolled: 1-line block ×5, first 2 shown]
	v_fma_f64 v[6:7], v[156:157], s[10:11], -v[6:7]
	v_add_f64 v[8:9], v[8:9], v[10:11]
	v_fma_f64 v[0:1], v[154:155], s[6:7], -v[0:1]
	v_add_f64 v[6:7], v[6:7], v[8:9]
	v_fmac_f64_e32 v[132:133], s[28:29], v[196:197]
	v_add_f64 v[106:107], v[0:1], v[6:7]
	v_fmac_f64_e32 v[128:129], s[24:25], v[194:195]
	;; [unrolled: 2-line block ×3, first 2 shown]
	v_add_f64 v[0:1], v[128:129], v[0:1]
	v_mul_f64 v[122:123], v[200:201], s[30:31]
	v_fmac_f64_e32 v[120:121], s[18:19], v[188:189]
	v_add_f64 v[0:1], v[124:125], v[0:1]
	s_mov_b32 s43, 0xbfefdd0d
	s_mov_b32 s42, s48
	v_mul_f64 v[118:119], v[198:199], s[36:37]
	v_fma_f64 v[124:125], s[22:23], v[176:177], v[122:123]
	v_fmac_f64_e32 v[116:117], s[16:17], v[186:187]
	v_add_f64 v[0:1], v[120:121], v[0:1]
	s_mov_b32 s55, 0x3fe9895b
	s_mov_b32 s54, s26
	v_mul_f64 v[114:115], v[190:191], s[42:43]
	v_fma_f64 v[120:121], s[14:15], v[172:173], v[118:119]
	v_add_f64 v[124:125], v[82:83], v[124:125]
	v_mul_f64 v[140:141], v[216:217], s[30:31]
	v_add_f64 v[0:1], v[116:117], v[0:1]
	s_mov_b32 s41, 0xbfd71e95
	s_mov_b32 s40, s38
	v_mul_f64 v[112:113], v[178:179], s[54:55]
	v_fma_f64 v[116:117], s[6:7], v[168:169], v[114:115]
	v_add_f64 v[120:121], v[120:121], v[124:125]
	v_mul_f64 v[136:137], v[214:215], s[36:37]
	v_fma_f64 v[142:143], v[196:197], s[22:23], -v[140:141]
	v_fmac_f64_e32 v[108:109], s[14:15], v[184:185]
	v_mul_f64 v[14:15], v[174:175], s[40:41]
	v_fma_f64 v[110:111], s[16:17], v[164:165], v[112:113]
	v_add_f64 v[116:117], v[116:117], v[120:121]
	v_mul_f64 v[132:133], v[212:213], s[42:43]
	v_fma_f64 v[138:139], v[194:195], s[14:15], -v[136:137]
	v_add_f64 v[142:143], v[80:81], v[142:143]
	v_fmac_f64_e32 v[12:13], s[10:11], v[182:183]
	v_add_f64 v[0:1], v[108:109], v[0:1]
	v_mul_f64 v[10:11], v[170:171], s[34:35]
	v_fma_f64 v[108:109], s[24:25], v[160:161], v[14:15]
	v_add_f64 v[110:111], v[110:111], v[116:117]
	v_mul_f64 v[128:129], v[210:211], s[54:55]
	v_fma_f64 v[134:135], v[192:193], s[6:7], -v[132:133]
	v_add_f64 v[138:139], v[138:139], v[142:143]
	v_fmac_f64_e32 v[2:3], s[6:7], v[180:181]
	v_add_f64 v[0:1], v[12:13], v[0:1]
	v_mul_f64 v[6:7], v[166:167], s[44:45]
	v_fma_f64 v[12:13], s[28:29], v[158:159], v[10:11]
	v_add_f64 v[108:109], v[108:109], v[110:111]
	v_mul_f64 v[124:125], v[208:209], s[40:41]
	v_fma_f64 v[130:131], v[188:189], s[16:17], -v[128:129]
	v_add_f64 v[134:135], v[134:135], v[138:139]
	v_add_f64 v[104:105], v[2:3], v[0:1]
	v_mul_f64 v[0:1], v[162:163], s[20:21]
	v_fma_f64 v[8:9], s[18:19], v[156:157], v[6:7]
	v_add_f64 v[12:13], v[12:13], v[108:109]
	v_mul_f64 v[116:117], v[206:207], s[34:35]
	v_fma_f64 v[126:127], v[186:187], s[24:25], -v[124:125]
	v_add_f64 v[130:131], v[130:131], v[134:135]
	v_fma_f64 v[2:3], s[10:11], v[154:155], v[0:1]
	v_add_f64 v[8:9], v[8:9], v[12:13]
	v_mul_f64 v[12:13], v[204:205], s[44:45]
	v_fma_f64 v[120:121], v[184:185], s[28:29], -v[116:117]
	v_add_f64 v[126:127], v[126:127], v[130:131]
	v_add_f64 v[110:111], v[2:3], v[8:9]
	v_mul_f64 v[2:3], v[202:203], s[20:21]
	v_fma_f64 v[108:109], v[182:183], s[18:19], -v[12:13]
	v_add_f64 v[120:121], v[120:121], v[126:127]
	v_fma_f64 v[8:9], v[180:181], s[10:11], -v[2:3]
	v_add_f64 v[108:109], v[108:109], v[120:121]
	v_add_f64 v[108:109], v[8:9], v[108:109]
	v_fma_f64 v[8:9], v[158:159], s[28:29], -v[10:11]
	v_fma_f64 v[10:11], v[160:161], s[24:25], -v[14:15]
	;; [unrolled: 1-line block ×6, first 2 shown]
	v_add_f64 v[118:119], v[82:83], v[118:119]
	v_add_f64 v[114:115], v[114:115], v[118:119]
	;; [unrolled: 1-line block ×5, first 2 shown]
	v_fma_f64 v[6:7], v[156:157], s[18:19], -v[6:7]
	v_add_f64 v[8:9], v[8:9], v[10:11]
	v_fma_f64 v[0:1], v[154:155], s[10:11], -v[0:1]
	v_add_f64 v[6:7], v[6:7], v[8:9]
	v_fmac_f64_e32 v[140:141], s[22:23], v[196:197]
	v_add_f64 v[114:115], v[0:1], v[6:7]
	v_fmac_f64_e32 v[136:137], s[14:15], v[194:195]
	;; [unrolled: 2-line block ×3, first 2 shown]
	v_add_f64 v[0:1], v[136:137], v[0:1]
	s_mov_b32 s53, 0x3feec746
	s_mov_b32 s52, s20
	v_mul_f64 v[130:131], v[200:201], s[26:27]
	v_fmac_f64_e32 v[128:129], s[16:17], v[188:189]
	v_add_f64 v[0:1], v[132:133], v[0:1]
	v_mul_f64 v[126:127], v[198:199], s[52:53]
	v_fma_f64 v[132:133], s[16:17], v[176:177], v[130:131]
	v_fmac_f64_e32 v[124:125], s[24:25], v[186:187]
	v_add_f64 v[0:1], v[128:129], v[0:1]
	v_mul_f64 v[122:123], v[190:191], s[40:41]
	v_fma_f64 v[128:129], s[10:11], v[172:173], v[126:127]
	v_add_f64 v[132:133], v[82:83], v[132:133]
	v_mul_f64 v[148:149], v[216:217], s[26:27]
	v_add_f64 v[0:1], v[124:125], v[0:1]
	v_mul_f64 v[120:121], v[178:179], s[30:31]
	v_fma_f64 v[124:125], s[24:25], v[168:169], v[122:123]
	v_add_f64 v[128:129], v[128:129], v[132:133]
	v_mul_f64 v[144:145], v[214:215], s[52:53]
	v_fma_f64 v[150:151], v[196:197], s[16:17], -v[148:149]
	v_fmac_f64_e32 v[116:117], s[28:29], v[184:185]
	s_mov_b32 s47, 0xbfe58eea
	s_mov_b32 s46, s44
	v_mul_f64 v[14:15], v[174:175], s[48:49]
	v_fma_f64 v[118:119], s[22:23], v[164:165], v[120:121]
	v_add_f64 v[124:125], v[124:125], v[128:129]
	v_mul_f64 v[140:141], v[212:213], s[40:41]
	v_fma_f64 v[146:147], v[194:195], s[10:11], -v[144:145]
	v_add_f64 v[150:151], v[80:81], v[150:151]
	v_fmac_f64_e32 v[12:13], s[18:19], v[182:183]
	v_add_f64 v[0:1], v[116:117], v[0:1]
	v_mul_f64 v[10:11], v[170:171], s[46:47]
	v_fma_f64 v[116:117], s[6:7], v[160:161], v[14:15]
	v_add_f64 v[118:119], v[118:119], v[124:125]
	v_mul_f64 v[136:137], v[210:211], s[30:31]
	v_fma_f64 v[142:143], v[192:193], s[24:25], -v[140:141]
	v_add_f64 v[146:147], v[146:147], v[150:151]
	v_fmac_f64_e32 v[2:3], s[10:11], v[180:181]
	v_add_f64 v[0:1], v[12:13], v[0:1]
	v_mul_f64 v[6:7], v[166:167], s[34:35]
	v_fma_f64 v[12:13], s[18:19], v[158:159], v[10:11]
	v_add_f64 v[116:117], v[116:117], v[118:119]
	v_mul_f64 v[132:133], v[208:209], s[48:49]
	v_fma_f64 v[138:139], v[188:189], s[22:23], -v[136:137]
	v_add_f64 v[142:143], v[142:143], v[146:147]
	v_add_f64 v[112:113], v[2:3], v[0:1]
	v_mul_f64 v[0:1], v[162:163], s[36:37]
	v_fma_f64 v[8:9], s[28:29], v[156:157], v[6:7]
	v_add_f64 v[12:13], v[12:13], v[116:117]
	v_mul_f64 v[124:125], v[206:207], s[46:47]
	v_fma_f64 v[134:135], v[186:187], s[6:7], -v[132:133]
	v_add_f64 v[138:139], v[138:139], v[142:143]
	v_fma_f64 v[2:3], s[14:15], v[154:155], v[0:1]
	v_add_f64 v[8:9], v[8:9], v[12:13]
	v_mul_f64 v[12:13], v[204:205], s[34:35]
	v_fma_f64 v[128:129], v[184:185], s[18:19], -v[124:125]
	v_add_f64 v[134:135], v[134:135], v[138:139]
	v_add_f64 v[118:119], v[2:3], v[8:9]
	v_mul_f64 v[2:3], v[202:203], s[36:37]
	v_fma_f64 v[116:117], v[182:183], s[28:29], -v[12:13]
	v_add_f64 v[128:129], v[128:129], v[134:135]
	v_fma_f64 v[8:9], v[180:181], s[14:15], -v[2:3]
	v_add_f64 v[116:117], v[116:117], v[128:129]
	v_add_f64 v[116:117], v[8:9], v[116:117]
	v_fma_f64 v[8:9], v[158:159], s[18:19], -v[10:11]
	v_fma_f64 v[10:11], v[160:161], s[6:7], -v[14:15]
	;; [unrolled: 1-line block ×6, first 2 shown]
	v_add_f64 v[126:127], v[82:83], v[126:127]
	v_add_f64 v[122:123], v[122:123], v[126:127]
	;; [unrolled: 1-line block ×5, first 2 shown]
	v_fma_f64 v[6:7], v[156:157], s[28:29], -v[6:7]
	v_add_f64 v[8:9], v[8:9], v[10:11]
	v_fma_f64 v[0:1], v[154:155], s[14:15], -v[0:1]
	v_add_f64 v[6:7], v[6:7], v[8:9]
	v_fmac_f64_e32 v[148:149], s[16:17], v[196:197]
	v_add_f64 v[122:123], v[0:1], v[6:7]
	v_fmac_f64_e32 v[144:145], s[10:11], v[194:195]
	v_add_f64 v[0:1], v[80:81], v[148:149]
	v_fmac_f64_e32 v[140:141], s[24:25], v[192:193]
	v_add_f64 v[0:1], v[144:145], v[0:1]
	s_mov_b32 s57, 0x3fe0d888
	s_mov_b32 s56, s30
	v_mul_f64 v[138:139], v[200:201], s[20:21]
	v_fmac_f64_e32 v[136:137], s[22:23], v[188:189]
	v_add_f64 v[0:1], v[140:141], v[0:1]
	v_mul_f64 v[134:135], v[198:199], s[56:57]
	v_fma_f64 v[140:141], s[10:11], v[176:177], v[138:139]
	v_fmac_f64_e32 v[132:133], s[6:7], v[186:187]
	v_add_f64 v[0:1], v[136:137], v[0:1]
	s_mov_b32 s51, 0xbfeca52d
	s_mov_b32 s50, s36
	v_mul_f64 v[130:131], v[190:191], s[44:45]
	v_fma_f64 v[136:137], s[22:23], v[172:173], v[134:135]
	v_add_f64 v[140:141], v[82:83], v[140:141]
	v_mul_f64 v[224:225], v[216:217], s[20:21]
	v_add_f64 v[0:1], v[132:133], v[0:1]
	v_mul_f64 v[128:129], v[178:179], s[50:51]
	v_fma_f64 v[132:133], s[18:19], v[168:169], v[130:131]
	v_add_f64 v[136:137], v[136:137], v[140:141]
	v_mul_f64 v[218:219], v[214:215], s[56:57]
	v_fma_f64 v[226:227], v[196:197], s[10:11], -v[224:225]
	v_fmac_f64_e32 v[124:125], s[18:19], v[184:185]
	v_mul_f64 v[14:15], v[174:175], s[34:35]
	v_fma_f64 v[126:127], s[14:15], v[164:165], v[128:129]
	v_add_f64 v[132:133], v[132:133], v[136:137]
	v_mul_f64 v[148:149], v[212:213], s[44:45]
	v_fma_f64 v[222:223], v[194:195], s[22:23], -v[218:219]
	v_add_f64 v[226:227], v[80:81], v[226:227]
	v_fmac_f64_e32 v[12:13], s[28:29], v[182:183]
	v_add_f64 v[0:1], v[124:125], v[0:1]
	v_mul_f64 v[10:11], v[170:171], s[48:49]
	v_fma_f64 v[124:125], s[28:29], v[160:161], v[14:15]
	v_add_f64 v[126:127], v[126:127], v[132:133]
	v_mul_f64 v[144:145], v[210:211], s[50:51]
	v_fma_f64 v[150:151], v[192:193], s[18:19], -v[148:149]
	v_add_f64 v[222:223], v[222:223], v[226:227]
	v_fmac_f64_e32 v[2:3], s[14:15], v[180:181]
	v_add_f64 v[0:1], v[12:13], v[0:1]
	v_mul_f64 v[6:7], v[166:167], s[40:41]
	v_fma_f64 v[12:13], s[6:7], v[158:159], v[10:11]
	v_add_f64 v[124:125], v[124:125], v[126:127]
	v_mul_f64 v[140:141], v[208:209], s[34:35]
	v_fma_f64 v[146:147], v[188:189], s[14:15], -v[144:145]
	v_add_f64 v[150:151], v[150:151], v[222:223]
	v_add_f64 v[120:121], v[2:3], v[0:1]
	v_mul_f64 v[0:1], v[162:163], s[26:27]
	v_fma_f64 v[8:9], s[24:25], v[156:157], v[6:7]
	v_add_f64 v[12:13], v[12:13], v[124:125]
	v_mul_f64 v[132:133], v[206:207], s[48:49]
	v_fma_f64 v[142:143], v[186:187], s[28:29], -v[140:141]
	v_add_f64 v[146:147], v[146:147], v[150:151]
	v_fma_f64 v[2:3], s[16:17], v[154:155], v[0:1]
	v_add_f64 v[8:9], v[8:9], v[12:13]
	v_mul_f64 v[12:13], v[204:205], s[40:41]
	v_fma_f64 v[136:137], v[184:185], s[6:7], -v[132:133]
	v_add_f64 v[142:143], v[142:143], v[146:147]
	v_add_f64 v[126:127], v[2:3], v[8:9]
	v_mul_f64 v[2:3], v[202:203], s[26:27]
	v_fma_f64 v[124:125], v[182:183], s[24:25], -v[12:13]
	v_add_f64 v[136:137], v[136:137], v[142:143]
	v_fma_f64 v[8:9], v[180:181], s[16:17], -v[2:3]
	v_add_f64 v[124:125], v[124:125], v[136:137]
	v_add_f64 v[124:125], v[8:9], v[124:125]
	v_fma_f64 v[8:9], v[158:159], s[6:7], -v[10:11]
	v_fma_f64 v[10:11], v[160:161], s[28:29], -v[14:15]
	;; [unrolled: 1-line block ×6, first 2 shown]
	v_add_f64 v[134:135], v[82:83], v[134:135]
	v_add_f64 v[130:131], v[130:131], v[134:135]
	;; [unrolled: 1-line block ×5, first 2 shown]
	v_fma_f64 v[6:7], v[156:157], s[24:25], -v[6:7]
	v_add_f64 v[8:9], v[8:9], v[10:11]
	v_fma_f64 v[0:1], v[154:155], s[16:17], -v[0:1]
	v_add_f64 v[6:7], v[6:7], v[8:9]
	v_fmac_f64_e32 v[224:225], s[10:11], v[196:197]
	v_add_f64 v[130:131], v[0:1], v[6:7]
	v_fmac_f64_e32 v[218:219], s[22:23], v[194:195]
	;; [unrolled: 2-line block ×3, first 2 shown]
	v_add_f64 v[0:1], v[218:219], v[0:1]
	v_mul_f64 v[146:147], v[200:201], s[42:43]
	v_fmac_f64_e32 v[144:145], s[14:15], v[188:189]
	v_add_f64 v[0:1], v[148:149], v[0:1]
	v_mul_f64 v[142:143], v[198:199], s[34:35]
	v_fma_f64 v[148:149], s[6:7], v[176:177], v[146:147]
	v_fmac_f64_e32 v[140:141], s[28:29], v[186:187]
	v_add_f64 v[0:1], v[144:145], v[0:1]
	v_mul_f64 v[138:139], v[190:191], s[52:53]
	v_fma_f64 v[144:145], s[28:29], v[172:173], v[142:143]
	v_add_f64 v[148:149], v[82:83], v[148:149]
	v_mul_f64 v[232:233], v[216:217], s[42:43]
	v_add_f64 v[0:1], v[140:141], v[0:1]
	v_mul_f64 v[136:137], v[178:179], s[38:39]
	v_fma_f64 v[140:141], s[10:11], v[168:169], v[138:139]
	v_add_f64 v[144:145], v[144:145], v[148:149]
	v_mul_f64 v[228:229], v[214:215], s[34:35]
	v_fma_f64 v[234:235], v[196:197], s[6:7], -v[232:233]
	v_fmac_f64_e32 v[132:133], s[6:7], v[184:185]
	v_mul_f64 v[14:15], v[174:175], s[50:51]
	v_fma_f64 v[134:135], s[24:25], v[164:165], v[136:137]
	v_add_f64 v[140:141], v[140:141], v[144:145]
	v_mul_f64 v[224:225], v[212:213], s[52:53]
	v_fma_f64 v[230:231], v[194:195], s[28:29], -v[228:229]
	v_add_f64 v[234:235], v[80:81], v[234:235]
	v_fmac_f64_e32 v[12:13], s[24:25], v[182:183]
	v_add_f64 v[0:1], v[132:133], v[0:1]
	v_mul_f64 v[10:11], v[170:171], s[30:31]
	v_fma_f64 v[132:133], s[14:15], v[160:161], v[14:15]
	v_add_f64 v[134:135], v[134:135], v[140:141]
	v_mul_f64 v[218:219], v[210:211], s[38:39]
	v_fma_f64 v[226:227], v[192:193], s[10:11], -v[224:225]
	v_add_f64 v[230:231], v[230:231], v[234:235]
	v_fmac_f64_e32 v[2:3], s[16:17], v[180:181]
	v_add_f64 v[0:1], v[12:13], v[0:1]
	v_mul_f64 v[6:7], v[166:167], s[54:55]
	v_fma_f64 v[12:13], s[22:23], v[158:159], v[10:11]
	v_add_f64 v[132:133], v[132:133], v[134:135]
	v_mul_f64 v[148:149], v[208:209], s[50:51]
	v_fma_f64 v[222:223], v[188:189], s[24:25], -v[218:219]
	v_add_f64 v[226:227], v[226:227], v[230:231]
	v_add_f64 v[128:129], v[2:3], v[0:1]
	v_mul_f64 v[0:1], v[162:163], s[44:45]
	v_fma_f64 v[8:9], s[16:17], v[156:157], v[6:7]
	v_add_f64 v[12:13], v[12:13], v[132:133]
	v_mul_f64 v[140:141], v[206:207], s[30:31]
	v_fma_f64 v[150:151], v[186:187], s[14:15], -v[148:149]
	v_add_f64 v[222:223], v[222:223], v[226:227]
	v_fma_f64 v[2:3], s[18:19], v[154:155], v[0:1]
	v_add_f64 v[8:9], v[8:9], v[12:13]
	v_mul_f64 v[12:13], v[204:205], s[54:55]
	v_fma_f64 v[144:145], v[184:185], s[22:23], -v[140:141]
	v_add_f64 v[150:151], v[150:151], v[222:223]
	v_add_f64 v[134:135], v[2:3], v[8:9]
	v_mul_f64 v[2:3], v[202:203], s[44:45]
	v_fma_f64 v[132:133], v[182:183], s[16:17], -v[12:13]
	v_add_f64 v[144:145], v[144:145], v[150:151]
	v_fma_f64 v[8:9], v[180:181], s[18:19], -v[2:3]
	v_add_f64 v[132:133], v[132:133], v[144:145]
	v_add_f64 v[132:133], v[8:9], v[132:133]
	v_fma_f64 v[8:9], v[158:159], s[22:23], -v[10:11]
	v_fma_f64 v[10:11], v[160:161], s[14:15], -v[14:15]
	;; [unrolled: 1-line block ×6, first 2 shown]
	v_add_f64 v[142:143], v[82:83], v[142:143]
	v_add_f64 v[138:139], v[138:139], v[142:143]
	v_add_f64 v[136:137], v[136:137], v[138:139]
	v_add_f64 v[14:15], v[14:15], v[136:137]
	v_add_f64 v[10:11], v[10:11], v[14:15]
	v_fma_f64 v[6:7], v[156:157], s[16:17], -v[6:7]
	v_add_f64 v[8:9], v[8:9], v[10:11]
	v_fma_f64 v[0:1], v[154:155], s[18:19], -v[0:1]
	v_add_f64 v[6:7], v[6:7], v[8:9]
	v_fmac_f64_e32 v[232:233], s[6:7], v[196:197]
	v_add_f64 v[138:139], v[0:1], v[6:7]
	v_fmac_f64_e32 v[228:229], s[28:29], v[194:195]
	;; [unrolled: 2-line block ×3, first 2 shown]
	v_add_f64 v[0:1], v[228:229], v[0:1]
	v_mul_f64 v[222:223], v[200:201], s[50:51]
	v_fmac_f64_e32 v[218:219], s[24:25], v[188:189]
	v_add_f64 v[0:1], v[224:225], v[0:1]
	s_mov_b32 s49, 0x3fc7851a
	s_mov_b32 s48, s34
	v_mul_f64 v[150:151], v[198:199], s[26:27]
	v_fma_f64 v[224:225], s[14:15], v[176:177], v[222:223]
	v_fmac_f64_e32 v[148:149], s[14:15], v[186:187]
	v_add_f64 v[0:1], v[218:219], v[0:1]
	v_mul_f64 v[146:147], v[190:191], s[48:49]
	v_fma_f64 v[218:219], s[16:17], v[172:173], v[150:151]
	v_add_f64 v[224:225], v[82:83], v[224:225]
	v_mul_f64 v[240:241], v[216:217], s[50:51]
	v_add_f64 v[0:1], v[148:149], v[0:1]
	v_mul_f64 v[144:145], v[178:179], s[52:53]
	v_fma_f64 v[148:149], s[28:29], v[168:169], v[146:147]
	v_add_f64 v[218:219], v[218:219], v[224:225]
	v_mul_f64 v[236:237], v[214:215], s[26:27]
	v_fma_f64 v[242:243], v[196:197], s[14:15], -v[240:241]
	v_fmac_f64_e32 v[140:141], s[22:23], v[184:185]
	v_mul_f64 v[14:15], v[174:175], s[44:45]
	v_fma_f64 v[142:143], s[10:11], v[164:165], v[144:145]
	v_add_f64 v[148:149], v[148:149], v[218:219]
	v_mul_f64 v[232:233], v[212:213], s[48:49]
	v_fma_f64 v[238:239], v[194:195], s[16:17], -v[236:237]
	v_add_f64 v[242:243], v[80:81], v[242:243]
	v_fmac_f64_e32 v[12:13], s[16:17], v[182:183]
	v_add_f64 v[0:1], v[140:141], v[0:1]
	v_mul_f64 v[10:11], v[170:171], s[40:41]
	v_fma_f64 v[140:141], s[18:19], v[160:161], v[14:15]
	v_add_f64 v[142:143], v[142:143], v[148:149]
	v_mul_f64 v[228:229], v[210:211], s[52:53]
	v_fma_f64 v[234:235], v[192:193], s[28:29], -v[232:233]
	v_add_f64 v[238:239], v[238:239], v[242:243]
	v_fmac_f64_e32 v[2:3], s[18:19], v[180:181]
	v_add_f64 v[0:1], v[12:13], v[0:1]
	v_mul_f64 v[6:7], v[166:167], s[42:43]
	v_fma_f64 v[12:13], s[24:25], v[158:159], v[10:11]
	v_add_f64 v[140:141], v[140:141], v[142:143]
	v_mul_f64 v[224:225], v[208:209], s[44:45]
	v_fma_f64 v[230:231], v[188:189], s[10:11], -v[228:229]
	v_add_f64 v[234:235], v[234:235], v[238:239]
	v_add_f64 v[136:137], v[2:3], v[0:1]
	v_mul_f64 v[0:1], v[162:163], s[30:31]
	v_fma_f64 v[8:9], s[6:7], v[156:157], v[6:7]
	v_add_f64 v[12:13], v[12:13], v[140:141]
	v_mul_f64 v[148:149], v[206:207], s[40:41]
	v_fma_f64 v[226:227], v[186:187], s[18:19], -v[224:225]
	v_add_f64 v[230:231], v[230:231], v[234:235]
	v_fma_f64 v[2:3], s[22:23], v[154:155], v[0:1]
	v_add_f64 v[8:9], v[8:9], v[12:13]
	v_mul_f64 v[12:13], v[204:205], s[42:43]
	v_fma_f64 v[218:219], v[184:185], s[24:25], -v[148:149]
	v_add_f64 v[226:227], v[226:227], v[230:231]
	v_add_f64 v[142:143], v[2:3], v[8:9]
	v_mul_f64 v[2:3], v[202:203], s[30:31]
	v_fma_f64 v[140:141], v[182:183], s[6:7], -v[12:13]
	v_add_f64 v[218:219], v[218:219], v[226:227]
	v_fma_f64 v[8:9], v[180:181], s[22:23], -v[2:3]
	v_add_f64 v[140:141], v[140:141], v[218:219]
	v_add_f64 v[140:141], v[8:9], v[140:141]
	v_fma_f64 v[8:9], v[158:159], s[24:25], -v[10:11]
	v_fma_f64 v[10:11], v[160:161], s[18:19], -v[14:15]
	v_fma_f64 v[14:15], v[164:165], s[10:11], -v[144:145]
	v_fma_f64 v[144:145], v[168:169], s[28:29], -v[146:147]
	v_fma_f64 v[146:147], v[172:173], s[16:17], -v[150:151]
	v_fma_f64 v[150:151], v[176:177], s[14:15], -v[222:223]
	v_add_f64 v[150:151], v[82:83], v[150:151]
	v_add_f64 v[146:147], v[146:147], v[150:151]
	;; [unrolled: 1-line block ×5, first 2 shown]
	v_fma_f64 v[6:7], v[156:157], s[6:7], -v[6:7]
	v_add_f64 v[8:9], v[8:9], v[10:11]
	v_fma_f64 v[0:1], v[154:155], s[22:23], -v[0:1]
	v_add_f64 v[6:7], v[6:7], v[8:9]
	v_fmac_f64_e32 v[240:241], s[14:15], v[196:197]
	v_add_f64 v[150:151], v[0:1], v[6:7]
	v_fmac_f64_e32 v[236:237], s[16:17], v[194:195]
	;; [unrolled: 2-line block ×3, first 2 shown]
	v_add_f64 v[0:1], v[236:237], v[0:1]
	v_mul_f64 v[230:231], v[200:201], s[46:47]
	v_fmac_f64_e32 v[228:229], s[10:11], v[188:189]
	v_add_f64 v[0:1], v[232:233], v[0:1]
	v_mul_f64 v[226:227], v[198:199], s[42:43]
	v_fma_f64 v[232:233], s[18:19], v[176:177], v[230:231]
	v_fmac_f64_e32 v[224:225], s[18:19], v[186:187]
	v_add_f64 v[0:1], v[228:229], v[0:1]
	v_mul_f64 v[222:223], v[190:191], s[26:27]
	v_fma_f64 v[228:229], s[6:7], v[172:173], v[226:227]
	v_add_f64 v[232:233], v[82:83], v[232:233]
	v_mul_f64 v[248:249], v[216:217], s[46:47]
	v_add_f64 v[0:1], v[224:225], v[0:1]
	v_mul_f64 v[218:219], v[178:179], s[34:35]
	v_fma_f64 v[224:225], s[16:17], v[168:169], v[222:223]
	v_add_f64 v[228:229], v[228:229], v[232:233]
	v_mul_f64 v[244:245], v[214:215], s[42:43]
	v_fma_f64 v[250:251], v[196:197], s[18:19], -v[248:249]
	v_fmac_f64_e32 v[148:149], s[24:25], v[184:185]
	v_mul_f64 v[14:15], v[174:175], s[56:57]
	v_fma_f64 v[146:147], s[28:29], v[164:165], v[218:219]
	v_add_f64 v[224:225], v[224:225], v[228:229]
	v_mul_f64 v[240:241], v[212:213], s[26:27]
	v_fma_f64 v[246:247], v[194:195], s[6:7], -v[244:245]
	v_add_f64 v[250:251], v[80:81], v[250:251]
	v_fmac_f64_e32 v[12:13], s[6:7], v[182:183]
	v_add_f64 v[0:1], v[148:149], v[0:1]
	v_mul_f64 v[10:11], v[170:171], s[52:53]
	v_fma_f64 v[144:145], s[22:23], v[160:161], v[14:15]
	v_add_f64 v[146:147], v[146:147], v[224:225]
	v_mul_f64 v[236:237], v[210:211], s[34:35]
	v_fma_f64 v[242:243], v[192:193], s[16:17], -v[240:241]
	v_add_f64 v[246:247], v[246:247], v[250:251]
	v_fmac_f64_e32 v[2:3], s[22:23], v[180:181]
	v_add_f64 v[0:1], v[12:13], v[0:1]
	v_mul_f64 v[6:7], v[166:167], s[36:37]
	v_fma_f64 v[12:13], s[10:11], v[158:159], v[10:11]
	v_add_f64 v[144:145], v[144:145], v[146:147]
	v_mul_f64 v[232:233], v[208:209], s[56:57]
	v_fma_f64 v[238:239], v[188:189], s[28:29], -v[236:237]
	v_add_f64 v[242:243], v[242:243], v[246:247]
	v_add_f64 v[148:149], v[2:3], v[0:1]
	v_mul_f64 v[0:1], v[162:163], s[38:39]
	v_fma_f64 v[8:9], s[14:15], v[156:157], v[6:7]
	v_add_f64 v[12:13], v[12:13], v[144:145]
	v_mul_f64 v[224:225], v[206:207], s[52:53]
	v_fma_f64 v[234:235], v[186:187], s[22:23], -v[232:233]
	v_add_f64 v[238:239], v[238:239], v[242:243]
	v_fma_f64 v[2:3], s[24:25], v[154:155], v[0:1]
	v_add_f64 v[8:9], v[8:9], v[12:13]
	v_mul_f64 v[12:13], v[204:205], s[36:37]
	v_fma_f64 v[228:229], v[184:185], s[10:11], -v[224:225]
	v_add_f64 v[234:235], v[234:235], v[238:239]
	v_add_f64 v[146:147], v[2:3], v[8:9]
	v_mul_f64 v[8:9], v[202:203], s[38:39]
	v_fma_f64 v[144:145], v[182:183], s[14:15], -v[12:13]
	v_add_f64 v[228:229], v[228:229], v[234:235]
	v_fma_f64 v[2:3], v[180:181], s[24:25], -v[8:9]
	v_add_f64 v[144:145], v[144:145], v[228:229]
	v_add_f64 v[144:145], v[2:3], v[144:145]
	v_fma_f64 v[2:3], v[156:157], s[14:15], -v[6:7]
	v_fma_f64 v[6:7], v[158:159], s[10:11], -v[10:11]
	;; [unrolled: 1-line block ×7, first 2 shown]
	v_add_f64 v[226:227], v[82:83], v[226:227]
	v_add_f64 v[222:223], v[222:223], v[226:227]
	;; [unrolled: 1-line block ×6, first 2 shown]
	v_fma_f64 v[0:1], v[154:155], s[24:25], -v[0:1]
	v_add_f64 v[2:3], v[2:3], v[6:7]
	v_fmac_f64_e32 v[248:249], s[18:19], v[196:197]
	v_add_f64 v[2:3], v[0:1], v[2:3]
	v_fmac_f64_e32 v[244:245], s[6:7], v[194:195]
	;; [unrolled: 2-line block ×8, first 2 shown]
	v_add_f64 v[0:1], v[12:13], v[0:1]
	v_mul_f64 v[12:13], v[166:167], s[30:31]
	v_mul_f64 v[166:167], v[174:175], s[20:21]
	;; [unrolled: 1-line block ×4, first 2 shown]
	v_add_f64 v[0:1], v[8:9], v[0:1]
	v_mul_f64 v[10:11], v[162:163], s[34:35]
	v_fma_f64 v[8:9], s[22:23], v[156:157], v[12:13]
	v_fma_f64 v[178:179], s[6:7], v[164:165], v[174:175]
	v_mul_f64 v[198:199], v[198:199], s[46:47]
	v_fma_f64 v[12:13], v[156:157], s[22:23], -v[12:13]
	v_fma_f64 v[156:157], v[164:165], s[6:7], -v[174:175]
	;; [unrolled: 1-line block ×3, first 2 shown]
	v_fma_f64 v[6:7], s[28:29], v[154:155], v[10:11]
	v_mul_f64 v[14:15], v[170:171], s[26:27]
	v_fma_f64 v[170:171], s[10:11], v[160:161], v[166:167]
	v_mul_f64 v[190:191], v[190:191], s[50:51]
	v_fma_f64 v[10:11], v[154:155], s[28:29], -v[10:11]
	v_fma_f64 v[154:155], v[160:161], s[10:11], -v[166:167]
	;; [unrolled: 1-line block ×3, first 2 shown]
	v_add_f64 v[164:165], v[82:83], v[164:165]
	v_fma_f64 v[162:163], s[16:17], v[158:159], v[14:15]
	v_fma_f64 v[14:15], v[158:159], s[16:17], -v[14:15]
	v_fma_f64 v[158:159], v[168:169], s[14:15], -v[190:191]
	v_add_f64 v[160:161], v[160:161], v[164:165]
	v_add_f64 v[158:159], v[158:159], v[160:161]
	;; [unrolled: 1-line block ×18, first 2 shown]
	v_accvgpr_read_b32 v157, a7
	v_add_f64 v[14:15], v[14:15], v[26:27]
	v_accvgpr_read_b32 v156, a6
	v_add_f64 v[14:15], v[14:15], v[156:157]
	v_add_f64 v[14:15], v[14:15], v[22:23]
	;; [unrolled: 1-line block ×8, first 2 shown]
	v_fma_f64 v[224:225], s[24:25], v[176:177], v[200:201]
	v_add_f64 v[14:15], v[14:15], v[88:89]
	v_fma_f64 v[222:223], s[18:19], v[172:173], v[198:199]
	v_add_f64 v[224:225], v[82:83], v[224:225]
	v_add_f64 v[14:15], v[14:15], v[84:85]
	v_fma_f64 v[218:219], s[14:15], v[168:169], v[190:191]
	v_add_f64 v[222:223], v[222:223], v[224:225]
	v_add_f64 v[14:15], v[14:15], v[72:73]
	;; [unrolled: 1-line block ×3, first 2 shown]
	v_mul_f64 v[216:217], v[216:217], s[40:41]
	v_add_f64 v[14:15], v[14:15], v[28:29]
	v_add_f64 v[178:179], v[178:179], v[218:219]
	v_mul_f64 v[214:215], v[214:215], s[46:47]
	v_fma_f64 v[226:227], v[196:197], s[24:25], -v[216:217]
	v_fmac_f64_e32 v[216:217], s[24:25], v[196:197]
	v_add_f64 v[14:15], v[14:15], v[36:37]
	v_add_f64 v[170:171], v[170:171], v[178:179]
	v_mul_f64 v[212:213], v[212:213], s[50:51]
	v_fma_f64 v[224:225], v[194:195], s[18:19], -v[214:215]
	v_add_f64 v[226:227], v[80:81], v[226:227]
	v_add_f64 v[12:13], v[10:11], v[12:13]
	v_fmac_f64_e32 v[214:215], s[18:19], v[194:195]
	v_add_f64 v[10:11], v[80:81], v[216:217]
	v_add_f64 v[14:15], v[14:15], v[32:33]
	;; [unrolled: 1-line block ×3, first 2 shown]
	v_mul_f64 v[210:211], v[210:211], s[42:43]
	v_fma_f64 v[222:223], v[192:193], s[14:15], -v[212:213]
	v_add_f64 v[224:225], v[224:225], v[226:227]
	v_fmac_f64_e32 v[212:213], s[14:15], v[192:193]
	v_add_f64 v[10:11], v[214:215], v[10:11]
	v_add_f64 v[14:15], v[14:15], v[16:17]
	;; [unrolled: 1-line block ×3, first 2 shown]
	v_mul_f64 v[162:163], v[202:203], s[34:35]
	v_mul_f64 v[202:203], v[206:207], s[26:27]
	;; [unrolled: 1-line block ×3, first 2 shown]
	v_fma_f64 v[218:219], v[188:189], s[6:7], -v[210:211]
	v_add_f64 v[222:223], v[222:223], v[224:225]
	v_fmac_f64_e32 v[210:211], s[6:7], v[188:189]
	v_add_f64 v[10:11], v[212:213], v[10:11]
	v_accvgpr_read_b32 v155, a5
	v_accvgpr_read_b32 v154, a4
	v_add_f64 v[14:15], v[14:15], v[24:25]
	v_fma_f64 v[208:209], v[186:187], s[10:11], -v[206:207]
	v_add_f64 v[218:219], v[218:219], v[222:223]
	v_fmac_f64_e32 v[206:207], s[10:11], v[186:187]
	v_add_f64 v[10:11], v[210:211], v[10:11]
	v_add_f64 v[14:15], v[14:15], v[154:155]
	v_mul_f64 v[170:171], v[204:205], s[30:31]
	v_fma_f64 v[204:205], v[184:185], s[16:17], -v[202:203]
	v_add_f64 v[208:209], v[208:209], v[218:219]
	v_fmac_f64_e32 v[202:203], s[16:17], v[184:185]
	v_add_f64 v[10:11], v[206:207], v[10:11]
	v_add_f64 v[14:15], v[14:15], v[20:21]
	v_fma_f64 v[178:179], v[182:183], s[22:23], -v[170:171]
	v_add_f64 v[204:205], v[204:205], v[208:209]
	v_fmac_f64_e32 v[170:171], s[22:23], v[182:183]
	v_add_f64 v[10:11], v[202:203], v[10:11]
	v_accvgpr_read_b32 v39, a23
	v_accvgpr_read_b32 v35, a19
	v_add_f64 v[16:17], v[14:15], v[252:253]
	v_accvgpr_read_b32 v14, a2
	v_add_f64 v[8:9], v[6:7], v[8:9]
	v_fma_f64 v[6:7], v[180:181], s[28:29], -v[162:163]
	v_add_f64 v[178:179], v[178:179], v[204:205]
	v_fmac_f64_e32 v[162:163], s[28:29], v[180:181]
	v_add_f64 v[10:11], v[170:171], v[10:11]
	v_accvgpr_read_b32 v38, a22
	v_accvgpr_read_b32 v37, a21
	v_accvgpr_read_b32 v36, a20
	v_accvgpr_read_b32 v34, a18
	v_accvgpr_read_b32 v33, a17
	v_accvgpr_read_b32 v32, a16
	v_lshl_add_u32 v14, v220, 4, v14
	v_add_f64 v[6:7], v[6:7], v[178:179]
	v_add_f64 v[10:11], v[162:163], v[10:11]
	ds_write_b128 v14, v[16:19]
	ds_write_b128 v14, v[10:13] offset:16
	ds_write_b128 v14, v[0:3] offset:32
	;; [unrolled: 1-line block ×16, first 2 shown]
.LBB0_13:
	s_or_b64 exec, exec, s[4:5]
	s_waitcnt lgkmcnt(0)
	s_barrier
	ds_read_b128 v[0:3], v5
	ds_read_b128 v[6:9], v5 offset:272
	ds_read_b128 v[10:13], v5 offset:544
	;; [unrolled: 1-line block ×8, first 2 shown]
	s_waitcnt lgkmcnt(7)
	v_mul_f64 v[30:31], v[46:47], v[8:9]
	v_fmac_f64_e32 v[30:31], v[44:45], v[6:7]
	v_mul_f64 v[6:7], v[46:47], v[6:7]
	v_fma_f64 v[6:7], v[44:45], v[8:9], -v[6:7]
	s_waitcnt lgkmcnt(6)
	v_mul_f64 v[8:9], v[42:43], v[12:13]
	v_fmac_f64_e32 v[8:9], v[40:41], v[10:11]
	v_mul_f64 v[10:11], v[42:43], v[10:11]
	v_fma_f64 v[10:11], v[40:41], v[12:13], -v[10:11]
	s_waitcnt lgkmcnt(5)
	v_mul_f64 v[12:13], v[38:39], v[16:17]
	v_fmac_f64_e32 v[12:13], v[36:37], v[14:15]
	v_mul_f64 v[14:15], v[38:39], v[14:15]
	v_fma_f64 v[14:15], v[36:37], v[16:17], -v[14:15]
	s_waitcnt lgkmcnt(4)
	v_mul_f64 v[36:37], v[34:35], v[20:21]
	v_mul_f64 v[16:17], v[34:35], v[18:19]
	v_fmac_f64_e32 v[36:37], v[32:33], v[18:19]
	v_fma_f64 v[32:33], v[32:33], v[20:21], -v[16:17]
	s_waitcnt lgkmcnt(3)
	v_mul_f64 v[16:17], v[62:63], v[22:23]
	v_fma_f64 v[38:39], v[60:61], v[24:25], -v[16:17]
	s_waitcnt lgkmcnt(2)
	v_mul_f64 v[16:17], v[58:59], v[28:29]
	v_mul_f64 v[34:35], v[62:63], v[24:25]
	v_fmac_f64_e32 v[16:17], v[56:57], v[26:27]
	v_mul_f64 v[18:19], v[58:59], v[26:27]
	s_waitcnt lgkmcnt(0)
	v_mul_f64 v[24:25], v[50:51], v[70:71]
	v_mul_f64 v[26:27], v[50:51], v[68:69]
	v_fmac_f64_e32 v[34:35], v[60:61], v[22:23]
	v_mul_f64 v[20:21], v[54:55], v[66:67]
	v_mul_f64 v[22:23], v[54:55], v[64:65]
	v_fmac_f64_e32 v[24:25], v[48:49], v[68:69]
	v_fma_f64 v[26:27], v[48:49], v[70:71], -v[26:27]
	s_mov_b32 s14, 0xa2cf5039
	v_fmac_f64_e32 v[20:21], v[52:53], v[64:65]
	v_fma_f64 v[22:23], v[52:53], v[66:67], -v[22:23]
	v_add_f64 v[40:41], v[30:31], v[24:25]
	v_add_f64 v[52:53], v[6:7], -v[26:27]
	s_mov_b32 s5, 0x3fe491b7
	s_mov_b32 s4, 0x523c161c
	s_mov_b32 s6, 0x8c811c17
	s_mov_b32 s15, 0x3fe8836f
	s_mov_b32 s16, 0x7e0b738b
	v_fma_f64 v[18:19], v[56:57], v[28:29], -v[18:19]
	v_add_f64 v[42:43], v[6:7], v[26:27]
	v_add_f64 v[44:45], v[8:9], v[20:21]
	;; [unrolled: 1-line block ×3, first 2 shown]
	v_add_f64 v[30:31], v[30:31], -v[24:25]
	v_add_f64 v[56:57], v[10:11], -v[22:23]
	;; [unrolled: 1-line block ×3, first 2 shown]
	v_mul_f64 v[12:13], v[52:53], s[4:5]
	s_mov_b32 s7, 0x3fef838b
	s_mov_b32 s10, 0xe8584cab
	v_fma_f64 v[6:7], s[14:15], v[40:41], v[0:1]
	s_mov_b32 s17, 0x3fc63a1a
	v_add_f64 v[46:47], v[10:11], v[22:23]
	v_add_f64 v[50:51], v[14:15], v[18:19]
	v_add_f64 v[54:55], v[8:9], -v[20:21]
	v_add_f64 v[60:61], v[14:15], -v[18:19]
	v_mul_f64 v[14:15], v[30:31], s[4:5]
	v_fmac_f64_e32 v[12:13], s[6:7], v[56:57]
	s_mov_b32 s11, 0x3febb67a
	s_mov_b32 s18, 0x748a0bf8
	v_fma_f64 v[8:9], s[14:15], v[42:43], v[2:3]
	v_fmac_f64_e32 v[6:7], s[16:17], v[44:45]
	s_mov_b32 s20, 0x42522d1b
	v_fmac_f64_e32 v[14:15], s[6:7], v[54:55]
	v_fmac_f64_e32 v[12:13], s[10:11], v[60:61]
	v_add_f64 v[64:65], v[32:33], -v[38:39]
	s_mov_b32 s19, 0x3fd5e3a8
	v_fmac_f64_e32 v[8:9], s[16:17], v[46:47]
	v_fmac_f64_e32 v[6:7], -0.5, v[48:49]
	v_add_f64 v[66:67], v[36:37], v[34:35]
	s_mov_b32 s21, 0xbfee11f6
	v_fmac_f64_e32 v[14:15], s[10:11], v[58:59]
	v_add_f64 v[62:63], v[36:37], -v[34:35]
	v_fmac_f64_e32 v[12:13], s[18:19], v[64:65]
	v_fmac_f64_e32 v[8:9], -0.5, v[50:51]
	v_add_f64 v[68:69], v[32:33], v[38:39]
	v_fmac_f64_e32 v[6:7], s[20:21], v[66:67]
	v_fmac_f64_e32 v[14:15], s[18:19], v[62:63]
	;; [unrolled: 1-line block ×3, first 2 shown]
	v_add_f64 v[6:7], v[6:7], -v[12:13]
	v_add_f64 v[8:9], v[14:15], v[8:9]
	v_mov_b64_e32 v[10:11], v[6:7]
	v_fmac_f64_e32 v[10:11], 2.0, v[12:13]
	v_mov_b64_e32 v[12:13], v[8:9]
	s_mov_b32 s5, 0xbfe491b7
	v_fmac_f64_e32 v[12:13], -2.0, v[14:15]
	v_mul_f64 v[20:21], v[64:65], s[4:5]
	v_fma_f64 v[14:15], s[14:15], v[66:67], v[0:1]
	v_mul_f64 v[22:23], v[62:63], s[4:5]
	v_fmac_f64_e32 v[20:21], s[6:7], v[52:53]
	s_mov_b32 s23, 0xbfebb67a
	s_mov_b32 s22, s10
	v_fma_f64 v[16:17], s[14:15], v[68:69], v[2:3]
	v_fmac_f64_e32 v[14:15], s[16:17], v[40:41]
	v_fmac_f64_e32 v[22:23], s[6:7], v[30:31]
	;; [unrolled: 1-line block ×4, first 2 shown]
	v_fmac_f64_e32 v[14:15], -0.5, v[48:49]
	v_fmac_f64_e32 v[22:23], s[22:23], v[58:59]
	v_fmac_f64_e32 v[20:21], s[18:19], v[56:57]
	v_fmac_f64_e32 v[16:17], -0.5, v[50:51]
	v_fmac_f64_e32 v[14:15], s[20:21], v[44:45]
	v_fmac_f64_e32 v[22:23], s[18:19], v[54:55]
	;; [unrolled: 1-line block ×3, first 2 shown]
	v_add_f64 v[14:15], v[14:15], -v[20:21]
	v_add_f64 v[16:17], v[22:23], v[16:17]
	v_mov_b64_e32 v[18:19], v[14:15]
	v_fmac_f64_e32 v[18:19], 2.0, v[20:21]
	v_mov_b64_e32 v[20:21], v[16:17]
	v_fmac_f64_e32 v[20:21], -2.0, v[22:23]
	v_add_f64 v[22:23], v[62:63], v[30:31]
	v_add_f64 v[24:25], v[64:65], v[52:53]
	v_mul_f64 v[62:63], v[62:63], s[6:7]
	v_mul_f64 v[64:65], v[64:65], s[6:7]
	v_add_f64 v[26:27], v[22:23], -v[54:55]
	v_add_f64 v[28:29], v[24:25], -v[56:57]
	v_fma_f64 v[54:55], v[54:55], s[4:5], -v[62:63]
	v_fma_f64 v[56:57], v[56:57], s[4:5], -v[64:65]
	v_add_f64 v[74:75], v[44:45], v[40:41]
	v_add_f64 v[76:77], v[46:47], v[42:43]
	v_fmac_f64_e32 v[54:55], s[10:11], v[58:59]
	v_fmac_f64_e32 v[56:57], s[10:11], v[60:61]
	;; [unrolled: 1-line block ×4, first 2 shown]
	v_add_f64 v[30:31], v[48:49], v[74:75]
	v_add_f64 v[52:53], v[50:51], v[76:77]
	;; [unrolled: 1-line block ×10, first 2 shown]
	v_fmac_f64_e32 v[0:1], s[14:15], v[44:45]
	v_fmac_f64_e32 v[2:3], s[14:15], v[46:47]
	;; [unrolled: 1-line block ×4, first 2 shown]
	v_add_f64 v[78:79], v[66:67], v[74:75]
	v_add_f64 v[80:81], v[68:69], v[76:77]
	v_fmac_f64_e32 v[0:1], -0.5, v[48:49]
	v_fmac_f64_e32 v[2:3], -0.5, v[50:51]
	;; [unrolled: 1-line block ×4, first 2 shown]
	v_fmac_f64_e32 v[0:1], s[20:21], v[40:41]
	v_fmac_f64_e32 v[2:3], s[20:21], v[42:43]
	;; [unrolled: 1-line block ×4, first 2 shown]
	v_add_f64 v[0:1], v[0:1], -v[56:57]
	v_add_f64 v[2:3], v[54:55], v[2:3]
	v_mul_f64 v[70:71], v[26:27], s[10:11]
	v_mul_f64 v[72:73], v[28:29], s[10:11]
	v_mov_b64_e32 v[26:27], v[22:23]
	v_mov_b64_e32 v[28:29], v[24:25]
	;; [unrolled: 1-line block ×4, first 2 shown]
	v_fmac_f64_e32 v[26:27], 2.0, v[72:73]
	v_fmac_f64_e32 v[28:29], -2.0, v[70:71]
	v_fmac_f64_e32 v[34:35], 2.0, v[56:57]
	v_fmac_f64_e32 v[36:37], -2.0, v[54:55]
	ds_write_b128 v4, v[30:33]
	ds_write_b128 v4, v[6:9] offset:272
	ds_write_b128 v4, v[14:17] offset:544
	;; [unrolled: 1-line block ×8, first 2 shown]
	s_waitcnt lgkmcnt(0)
	s_barrier
	s_and_b64 exec, exec, vcc
	s_cbranch_execz .LBB0_15
; %bb.14:
	global_load_dwordx4 v[6:9], v153, s[8:9]
	v_accvgpr_read_b32 v2, a1
	v_lshl_add_u32 v2, v2, 4, v153
	ds_read_b128 v[10:13], v4
	ds_read_b128 v[14:17], v2 offset:144
	v_mad_u64_u32 v[18:19], s[4:5], s2, v152, 0
	v_mad_u64_u32 v[20:21], s[6:7], s0, v221, 0
	v_mov_b32_e32 v22, v19
	v_mov_b32_e32 v24, v21
	v_mad_u64_u32 v[4:5], s[2:3], s3, v152, v[22:23]
	v_mov_b32_e32 v0, s12
	v_mov_b32_e32 v1, s13
	s_mov_b32 s4, 0x1ac5701b
	v_mad_u64_u32 v[22:23], s[2:3], s1, v221, v[24:25]
	v_mov_b32_e32 v19, v4
	s_mov_b32 s5, 0x3f7ac570
	v_mov_b32_e32 v21, v22
	v_lshl_add_u64 v[0:1], v[18:19], 4, v[0:1]
	v_lshl_add_u64 v[18:19], v[20:21], 4, v[0:1]
	v_mov_b32_e32 v3, 0x90
	s_mul_i32 s2, s1, 0x90
	s_waitcnt vmcnt(0) lgkmcnt(1)
	v_mul_f64 v[4:5], v[12:13], v[8:9]
	v_mul_f64 v[8:9], v[10:11], v[8:9]
	v_fmac_f64_e32 v[4:5], v[10:11], v[6:7]
	v_fma_f64 v[6:7], v[6:7], v[12:13], -v[8:9]
	v_mul_f64 v[4:5], v[4:5], s[4:5]
	v_mul_f64 v[6:7], v[6:7], s[4:5]
	global_store_dwordx4 v[18:19], v[4:7], off
	global_load_dwordx4 v[4:7], v153, s[8:9] offset:144
	v_mad_u64_u32 v[18:19], s[6:7], s0, v3, v[18:19]
	v_add_u32_e32 v19, s2, v19
	s_waitcnt vmcnt(0) lgkmcnt(0)
	v_mul_f64 v[8:9], v[16:17], v[6:7]
	v_mul_f64 v[6:7], v[14:15], v[6:7]
	v_fmac_f64_e32 v[8:9], v[14:15], v[4:5]
	v_fma_f64 v[6:7], v[4:5], v[16:17], -v[6:7]
	v_mul_f64 v[4:5], v[8:9], s[4:5]
	v_mul_f64 v[6:7], v[6:7], s[4:5]
	global_store_dwordx4 v[18:19], v[4:7], off
	global_load_dwordx4 v[4:7], v153, s[8:9] offset:288
	ds_read_b128 v[8:11], v2 offset:288
	ds_read_b128 v[12:15], v2 offset:432
	v_mad_u64_u32 v[16:17], s[6:7], s0, v3, v[18:19]
	v_add_u32_e32 v17, s2, v17
	s_waitcnt vmcnt(0) lgkmcnt(1)
	v_mul_f64 v[18:19], v[10:11], v[6:7]
	v_mul_f64 v[6:7], v[8:9], v[6:7]
	v_fmac_f64_e32 v[18:19], v[8:9], v[4:5]
	v_fma_f64 v[6:7], v[4:5], v[10:11], -v[6:7]
	v_mul_f64 v[4:5], v[18:19], s[4:5]
	v_mul_f64 v[6:7], v[6:7], s[4:5]
	global_store_dwordx4 v[16:17], v[4:7], off
	global_load_dwordx4 v[4:7], v153, s[8:9] offset:432
	v_mad_u64_u32 v[16:17], s[6:7], s0, v3, v[16:17]
	v_add_u32_e32 v17, s2, v17
	s_waitcnt vmcnt(0) lgkmcnt(0)
	v_mul_f64 v[8:9], v[14:15], v[6:7]
	v_mul_f64 v[6:7], v[12:13], v[6:7]
	v_fmac_f64_e32 v[8:9], v[12:13], v[4:5]
	v_fma_f64 v[6:7], v[4:5], v[14:15], -v[6:7]
	v_mul_f64 v[4:5], v[8:9], s[4:5]
	v_mul_f64 v[6:7], v[6:7], s[4:5]
	global_store_dwordx4 v[16:17], v[4:7], off
	global_load_dwordx4 v[4:7], v153, s[8:9] offset:576
	ds_read_b128 v[8:11], v2 offset:576
	ds_read_b128 v[12:15], v2 offset:720
	v_mad_u64_u32 v[16:17], s[6:7], s0, v3, v[16:17]
	v_add_u32_e32 v17, s2, v17
	;; [unrolled: 24-line block ×7, first 2 shown]
	s_waitcnt vmcnt(0) lgkmcnt(1)
	v_mul_f64 v[18:19], v[10:11], v[6:7]
	v_mul_f64 v[6:7], v[8:9], v[6:7]
	v_fmac_f64_e32 v[18:19], v[8:9], v[4:5]
	v_fma_f64 v[6:7], v[4:5], v[10:11], -v[6:7]
	v_mul_f64 v[4:5], v[18:19], s[4:5]
	v_mul_f64 v[6:7], v[6:7], s[4:5]
	global_store_dwordx4 v[16:17], v[4:7], off
	global_load_dwordx4 v[4:7], v153, s[8:9] offset:2160
	v_mad_u64_u32 v[8:9], s[6:7], s0, v3, v[16:17]
	v_add_u32_e32 v9, s2, v9
	v_or_b32_e32 v3, 0x90, v221
	s_waitcnt vmcnt(0) lgkmcnt(0)
	v_mul_f64 v[10:11], v[14:15], v[6:7]
	v_mul_f64 v[6:7], v[12:13], v[6:7]
	v_fmac_f64_e32 v[10:11], v[12:13], v[4:5]
	v_fma_f64 v[6:7], v[4:5], v[14:15], -v[6:7]
	v_mul_f64 v[4:5], v[10:11], s[4:5]
	v_mul_f64 v[6:7], v[6:7], s[4:5]
	global_store_dwordx4 v[8:9], v[4:7], off
	global_load_dwordx4 v[4:7], v153, s[8:9] offset:2304
	ds_read_b128 v[8:11], v2 offset:2304
	v_mad_u64_u32 v[12:13], s[2:3], s0, v3, 0
	v_mov_b32_e32 v2, v13
	v_mad_u64_u32 v[2:3], s[0:1], s1, v3, v[2:3]
	v_mov_b32_e32 v13, v2
	v_lshl_add_u64 v[0:1], v[12:13], 4, v[0:1]
	s_waitcnt vmcnt(0) lgkmcnt(0)
	v_mul_f64 v[2:3], v[10:11], v[6:7]
	v_mul_f64 v[6:7], v[8:9], v[6:7]
	v_fmac_f64_e32 v[2:3], v[8:9], v[4:5]
	v_fma_f64 v[4:5], v[4:5], v[10:11], -v[6:7]
	v_mul_f64 v[2:3], v[2:3], s[4:5]
	v_mul_f64 v[4:5], v[4:5], s[4:5]
	global_store_dwordx4 v[0:1], v[2:5], off
.LBB0_15:
	s_endpgm
	.section	.rodata,"a",@progbits
	.p2align	6, 0x0
	.amdhsa_kernel bluestein_single_fwd_len153_dim1_dp_op_CI_CI
		.amdhsa_group_segment_fixed_size 17136
		.amdhsa_private_segment_fixed_size 0
		.amdhsa_kernarg_size 104
		.amdhsa_user_sgpr_count 2
		.amdhsa_user_sgpr_dispatch_ptr 0
		.amdhsa_user_sgpr_queue_ptr 0
		.amdhsa_user_sgpr_kernarg_segment_ptr 1
		.amdhsa_user_sgpr_dispatch_id 0
		.amdhsa_user_sgpr_kernarg_preload_length 0
		.amdhsa_user_sgpr_kernarg_preload_offset 0
		.amdhsa_user_sgpr_private_segment_size 0
		.amdhsa_uses_dynamic_stack 0
		.amdhsa_enable_private_segment 0
		.amdhsa_system_sgpr_workgroup_id_x 1
		.amdhsa_system_sgpr_workgroup_id_y 0
		.amdhsa_system_sgpr_workgroup_id_z 0
		.amdhsa_system_sgpr_workgroup_info 0
		.amdhsa_system_vgpr_workitem_id 0
		.amdhsa_next_free_vgpr 400
		.amdhsa_next_free_sgpr 58
		.amdhsa_accum_offset 256
		.amdhsa_reserve_vcc 1
		.amdhsa_float_round_mode_32 0
		.amdhsa_float_round_mode_16_64 0
		.amdhsa_float_denorm_mode_32 3
		.amdhsa_float_denorm_mode_16_64 3
		.amdhsa_dx10_clamp 1
		.amdhsa_ieee_mode 1
		.amdhsa_fp16_overflow 0
		.amdhsa_tg_split 0
		.amdhsa_exception_fp_ieee_invalid_op 0
		.amdhsa_exception_fp_denorm_src 0
		.amdhsa_exception_fp_ieee_div_zero 0
		.amdhsa_exception_fp_ieee_overflow 0
		.amdhsa_exception_fp_ieee_underflow 0
		.amdhsa_exception_fp_ieee_inexact 0
		.amdhsa_exception_int_div_zero 0
	.end_amdhsa_kernel
	.text
.Lfunc_end0:
	.size	bluestein_single_fwd_len153_dim1_dp_op_CI_CI, .Lfunc_end0-bluestein_single_fwd_len153_dim1_dp_op_CI_CI
                                        ; -- End function
	.section	.AMDGPU.csdata,"",@progbits
; Kernel info:
; codeLenInByte = 22388
; NumSgprs: 64
; NumVgprs: 256
; NumAgprs: 144
; TotalNumVgprs: 400
; ScratchSize: 0
; MemoryBound: 0
; FloatMode: 240
; IeeeMode: 1
; LDSByteSize: 17136 bytes/workgroup (compile time only)
; SGPRBlocks: 7
; VGPRBlocks: 49
; NumSGPRsForWavesPerEU: 64
; NumVGPRsForWavesPerEU: 400
; AccumOffset: 256
; Occupancy: 1
; WaveLimiterHint : 1
; COMPUTE_PGM_RSRC2:SCRATCH_EN: 0
; COMPUTE_PGM_RSRC2:USER_SGPR: 2
; COMPUTE_PGM_RSRC2:TRAP_HANDLER: 0
; COMPUTE_PGM_RSRC2:TGID_X_EN: 1
; COMPUTE_PGM_RSRC2:TGID_Y_EN: 0
; COMPUTE_PGM_RSRC2:TGID_Z_EN: 0
; COMPUTE_PGM_RSRC2:TIDIG_COMP_CNT: 0
; COMPUTE_PGM_RSRC3_GFX90A:ACCUM_OFFSET: 63
; COMPUTE_PGM_RSRC3_GFX90A:TG_SPLIT: 0
	.text
	.p2alignl 6, 3212836864
	.fill 256, 4, 3212836864
	.type	__hip_cuid_2c6abe8c7ac59fbf,@object ; @__hip_cuid_2c6abe8c7ac59fbf
	.section	.bss,"aw",@nobits
	.globl	__hip_cuid_2c6abe8c7ac59fbf
__hip_cuid_2c6abe8c7ac59fbf:
	.byte	0                               ; 0x0
	.size	__hip_cuid_2c6abe8c7ac59fbf, 1

	.ident	"AMD clang version 19.0.0git (https://github.com/RadeonOpenCompute/llvm-project roc-6.4.0 25133 c7fe45cf4b819c5991fe208aaa96edf142730f1d)"
	.section	".note.GNU-stack","",@progbits
	.addrsig
	.addrsig_sym __hip_cuid_2c6abe8c7ac59fbf
	.amdgpu_metadata
---
amdhsa.kernels:
  - .agpr_count:     144
    .args:
      - .actual_access:  read_only
        .address_space:  global
        .offset:         0
        .size:           8
        .value_kind:     global_buffer
      - .actual_access:  read_only
        .address_space:  global
        .offset:         8
        .size:           8
        .value_kind:     global_buffer
      - .actual_access:  read_only
        .address_space:  global
        .offset:         16
        .size:           8
        .value_kind:     global_buffer
      - .actual_access:  read_only
        .address_space:  global
        .offset:         24
        .size:           8
        .value_kind:     global_buffer
      - .actual_access:  read_only
        .address_space:  global
        .offset:         32
        .size:           8
        .value_kind:     global_buffer
      - .offset:         40
        .size:           8
        .value_kind:     by_value
      - .address_space:  global
        .offset:         48
        .size:           8
        .value_kind:     global_buffer
      - .address_space:  global
        .offset:         56
        .size:           8
        .value_kind:     global_buffer
      - .address_space:  global
        .offset:         64
        .size:           8
        .value_kind:     global_buffer
      - .address_space:  global
        .offset:         72
        .size:           8
        .value_kind:     global_buffer
      - .offset:         80
        .size:           4
        .value_kind:     by_value
      - .address_space:  global
        .offset:         88
        .size:           8
        .value_kind:     global_buffer
      - .address_space:  global
        .offset:         96
        .size:           8
        .value_kind:     global_buffer
    .group_segment_fixed_size: 17136
    .kernarg_segment_align: 8
    .kernarg_segment_size: 104
    .language:       OpenCL C
    .language_version:
      - 2
      - 0
    .max_flat_workgroup_size: 119
    .name:           bluestein_single_fwd_len153_dim1_dp_op_CI_CI
    .private_segment_fixed_size: 0
    .sgpr_count:     64
    .sgpr_spill_count: 0
    .symbol:         bluestein_single_fwd_len153_dim1_dp_op_CI_CI.kd
    .uniform_work_group_size: 1
    .uses_dynamic_stack: false
    .vgpr_count:     400
    .vgpr_spill_count: 0
    .wavefront_size: 64
amdhsa.target:   amdgcn-amd-amdhsa--gfx950
amdhsa.version:
  - 1
  - 2
...

	.end_amdgpu_metadata
